;; amdgpu-corpus repo=ROCm/rocFFT kind=compiled arch=gfx906 opt=O3
	.text
	.amdgcn_target "amdgcn-amd-amdhsa--gfx906"
	.amdhsa_code_object_version 6
	.protected	fft_rtc_back_len2430_factors_10_3_3_3_3_3_wgs_81_tpt_81_halfLds_dp_ip_CI_unitstride_sbrr_R2C_dirReg ; -- Begin function fft_rtc_back_len2430_factors_10_3_3_3_3_3_wgs_81_tpt_81_halfLds_dp_ip_CI_unitstride_sbrr_R2C_dirReg
	.globl	fft_rtc_back_len2430_factors_10_3_3_3_3_3_wgs_81_tpt_81_halfLds_dp_ip_CI_unitstride_sbrr_R2C_dirReg
	.p2align	8
	.type	fft_rtc_back_len2430_factors_10_3_3_3_3_3_wgs_81_tpt_81_halfLds_dp_ip_CI_unitstride_sbrr_R2C_dirReg,@function
fft_rtc_back_len2430_factors_10_3_3_3_3_3_wgs_81_tpt_81_halfLds_dp_ip_CI_unitstride_sbrr_R2C_dirReg: ; @fft_rtc_back_len2430_factors_10_3_3_3_3_3_wgs_81_tpt_81_halfLds_dp_ip_CI_unitstride_sbrr_R2C_dirReg
; %bb.0:
	s_load_dwordx2 s[2:3], s[4:5], 0x50
	s_load_dwordx4 s[8:11], s[4:5], 0x0
	s_load_dwordx2 s[12:13], s[4:5], 0x18
	v_mul_u32_u24_e32 v1, 0x32a, v0
	v_add_u32_sdwa v5, s6, v1 dst_sel:DWORD dst_unused:UNUSED_PAD src0_sel:DWORD src1_sel:WORD_1
	v_mov_b32_e32 v3, 0
	s_waitcnt lgkmcnt(0)
	v_cmp_lt_u64_e64 s[0:1], s[10:11], 2
	v_mov_b32_e32 v1, 0
	v_mov_b32_e32 v6, v3
	s_and_b64 vcc, exec, s[0:1]
	v_mov_b32_e32 v2, 0
	s_cbranch_vccnz .LBB0_8
; %bb.1:
	s_load_dwordx2 s[0:1], s[4:5], 0x10
	s_add_u32 s6, s12, 8
	s_addc_u32 s7, s13, 0
	v_mov_b32_e32 v1, 0
	v_mov_b32_e32 v2, 0
	s_waitcnt lgkmcnt(0)
	s_add_u32 s14, s0, 8
	s_addc_u32 s15, s1, 0
	s_mov_b64 s[16:17], 1
.LBB0_2:                                ; =>This Inner Loop Header: Depth=1
	s_load_dwordx2 s[18:19], s[14:15], 0x0
                                        ; implicit-def: $vgpr7_vgpr8
	s_waitcnt lgkmcnt(0)
	v_or_b32_e32 v4, s19, v6
	v_cmp_ne_u64_e32 vcc, 0, v[3:4]
	s_and_saveexec_b64 s[0:1], vcc
	s_xor_b64 s[20:21], exec, s[0:1]
	s_cbranch_execz .LBB0_4
; %bb.3:                                ;   in Loop: Header=BB0_2 Depth=1
	v_cvt_f32_u32_e32 v4, s18
	v_cvt_f32_u32_e32 v7, s19
	s_sub_u32 s0, 0, s18
	s_subb_u32 s1, 0, s19
	v_mac_f32_e32 v4, 0x4f800000, v7
	v_rcp_f32_e32 v4, v4
	v_mul_f32_e32 v4, 0x5f7ffffc, v4
	v_mul_f32_e32 v7, 0x2f800000, v4
	v_trunc_f32_e32 v7, v7
	v_mac_f32_e32 v4, 0xcf800000, v7
	v_cvt_u32_f32_e32 v7, v7
	v_cvt_u32_f32_e32 v4, v4
	v_mul_lo_u32 v8, s0, v7
	v_mul_hi_u32 v9, s0, v4
	v_mul_lo_u32 v11, s1, v4
	v_mul_lo_u32 v10, s0, v4
	v_add_u32_e32 v8, v9, v8
	v_add_u32_e32 v8, v8, v11
	v_mul_hi_u32 v9, v4, v10
	v_mul_lo_u32 v11, v4, v8
	v_mul_hi_u32 v13, v4, v8
	v_mul_hi_u32 v12, v7, v10
	v_mul_lo_u32 v10, v7, v10
	v_mul_hi_u32 v14, v7, v8
	v_add_co_u32_e32 v9, vcc, v9, v11
	v_addc_co_u32_e32 v11, vcc, 0, v13, vcc
	v_mul_lo_u32 v8, v7, v8
	v_add_co_u32_e32 v9, vcc, v9, v10
	v_addc_co_u32_e32 v9, vcc, v11, v12, vcc
	v_addc_co_u32_e32 v10, vcc, 0, v14, vcc
	v_add_co_u32_e32 v8, vcc, v9, v8
	v_addc_co_u32_e32 v9, vcc, 0, v10, vcc
	v_add_co_u32_e32 v4, vcc, v4, v8
	v_addc_co_u32_e32 v7, vcc, v7, v9, vcc
	v_mul_lo_u32 v8, s0, v7
	v_mul_hi_u32 v9, s0, v4
	v_mul_lo_u32 v10, s1, v4
	v_mul_lo_u32 v11, s0, v4
	v_add_u32_e32 v8, v9, v8
	v_add_u32_e32 v8, v8, v10
	v_mul_lo_u32 v12, v4, v8
	v_mul_hi_u32 v13, v4, v11
	v_mul_hi_u32 v14, v4, v8
	;; [unrolled: 1-line block ×3, first 2 shown]
	v_mul_lo_u32 v11, v7, v11
	v_mul_hi_u32 v9, v7, v8
	v_add_co_u32_e32 v12, vcc, v13, v12
	v_addc_co_u32_e32 v13, vcc, 0, v14, vcc
	v_mul_lo_u32 v8, v7, v8
	v_add_co_u32_e32 v11, vcc, v12, v11
	v_addc_co_u32_e32 v10, vcc, v13, v10, vcc
	v_addc_co_u32_e32 v9, vcc, 0, v9, vcc
	v_add_co_u32_e32 v8, vcc, v10, v8
	v_addc_co_u32_e32 v9, vcc, 0, v9, vcc
	v_add_co_u32_e32 v4, vcc, v4, v8
	v_addc_co_u32_e32 v9, vcc, v7, v9, vcc
	v_mad_u64_u32 v[7:8], s[0:1], v5, v9, 0
	v_mul_hi_u32 v10, v5, v4
	v_add_co_u32_e32 v11, vcc, v10, v7
	v_addc_co_u32_e32 v12, vcc, 0, v8, vcc
	v_mad_u64_u32 v[7:8], s[0:1], v6, v4, 0
	v_mad_u64_u32 v[9:10], s[0:1], v6, v9, 0
	v_add_co_u32_e32 v4, vcc, v11, v7
	v_addc_co_u32_e32 v4, vcc, v12, v8, vcc
	v_addc_co_u32_e32 v7, vcc, 0, v10, vcc
	v_add_co_u32_e32 v4, vcc, v4, v9
	v_addc_co_u32_e32 v9, vcc, 0, v7, vcc
	v_mul_lo_u32 v10, s19, v4
	v_mul_lo_u32 v11, s18, v9
	v_mad_u64_u32 v[7:8], s[0:1], s18, v4, 0
	v_add3_u32 v8, v8, v11, v10
	v_sub_u32_e32 v10, v6, v8
	v_mov_b32_e32 v11, s19
	v_sub_co_u32_e32 v7, vcc, v5, v7
	v_subb_co_u32_e64 v10, s[0:1], v10, v11, vcc
	v_subrev_co_u32_e64 v11, s[0:1], s18, v7
	v_subbrev_co_u32_e64 v10, s[0:1], 0, v10, s[0:1]
	v_cmp_le_u32_e64 s[0:1], s19, v10
	v_cndmask_b32_e64 v12, 0, -1, s[0:1]
	v_cmp_le_u32_e64 s[0:1], s18, v11
	v_cndmask_b32_e64 v11, 0, -1, s[0:1]
	v_cmp_eq_u32_e64 s[0:1], s19, v10
	v_cndmask_b32_e64 v10, v12, v11, s[0:1]
	v_add_co_u32_e64 v11, s[0:1], 2, v4
	v_addc_co_u32_e64 v12, s[0:1], 0, v9, s[0:1]
	v_add_co_u32_e64 v13, s[0:1], 1, v4
	v_addc_co_u32_e64 v14, s[0:1], 0, v9, s[0:1]
	v_subb_co_u32_e32 v8, vcc, v6, v8, vcc
	v_cmp_ne_u32_e64 s[0:1], 0, v10
	v_cmp_le_u32_e32 vcc, s19, v8
	v_cndmask_b32_e64 v10, v14, v12, s[0:1]
	v_cndmask_b32_e64 v12, 0, -1, vcc
	v_cmp_le_u32_e32 vcc, s18, v7
	v_cndmask_b32_e64 v7, 0, -1, vcc
	v_cmp_eq_u32_e32 vcc, s19, v8
	v_cndmask_b32_e32 v7, v12, v7, vcc
	v_cmp_ne_u32_e32 vcc, 0, v7
	v_cndmask_b32_e64 v7, v13, v11, s[0:1]
	v_cndmask_b32_e32 v8, v9, v10, vcc
	v_cndmask_b32_e32 v7, v4, v7, vcc
.LBB0_4:                                ;   in Loop: Header=BB0_2 Depth=1
	s_andn2_saveexec_b64 s[0:1], s[20:21]
	s_cbranch_execz .LBB0_6
; %bb.5:                                ;   in Loop: Header=BB0_2 Depth=1
	v_cvt_f32_u32_e32 v4, s18
	s_sub_i32 s20, 0, s18
	v_rcp_iflag_f32_e32 v4, v4
	v_mul_f32_e32 v4, 0x4f7ffffe, v4
	v_cvt_u32_f32_e32 v4, v4
	v_mul_lo_u32 v7, s20, v4
	v_mul_hi_u32 v7, v4, v7
	v_add_u32_e32 v4, v4, v7
	v_mul_hi_u32 v4, v5, v4
	v_mul_lo_u32 v7, v4, s18
	v_add_u32_e32 v8, 1, v4
	v_sub_u32_e32 v7, v5, v7
	v_subrev_u32_e32 v9, s18, v7
	v_cmp_le_u32_e32 vcc, s18, v7
	v_cndmask_b32_e32 v7, v7, v9, vcc
	v_cndmask_b32_e32 v4, v4, v8, vcc
	v_add_u32_e32 v8, 1, v4
	v_cmp_le_u32_e32 vcc, s18, v7
	v_cndmask_b32_e32 v7, v4, v8, vcc
	v_mov_b32_e32 v8, v3
.LBB0_6:                                ;   in Loop: Header=BB0_2 Depth=1
	s_or_b64 exec, exec, s[0:1]
	v_mul_lo_u32 v4, v8, s18
	v_mul_lo_u32 v11, v7, s19
	v_mad_u64_u32 v[9:10], s[0:1], v7, s18, 0
	s_load_dwordx2 s[0:1], s[6:7], 0x0
	s_add_u32 s16, s16, 1
	v_add3_u32 v4, v10, v11, v4
	v_sub_co_u32_e32 v5, vcc, v5, v9
	v_subb_co_u32_e32 v4, vcc, v6, v4, vcc
	s_waitcnt lgkmcnt(0)
	v_mul_lo_u32 v4, s0, v4
	v_mul_lo_u32 v6, s1, v5
	v_mad_u64_u32 v[1:2], s[0:1], s0, v5, v[1:2]
	s_addc_u32 s17, s17, 0
	s_add_u32 s6, s6, 8
	v_add3_u32 v2, v6, v2, v4
	v_mov_b32_e32 v4, s10
	v_mov_b32_e32 v5, s11
	s_addc_u32 s7, s7, 0
	v_cmp_ge_u64_e32 vcc, s[16:17], v[4:5]
	s_add_u32 s14, s14, 8
	s_addc_u32 s15, s15, 0
	s_cbranch_vccnz .LBB0_9
; %bb.7:                                ;   in Loop: Header=BB0_2 Depth=1
	v_mov_b32_e32 v5, v7
	v_mov_b32_e32 v6, v8
	s_branch .LBB0_2
.LBB0_8:
	v_mov_b32_e32 v8, v6
	v_mov_b32_e32 v7, v5
.LBB0_9:
	s_lshl_b64 s[0:1], s[10:11], 3
	s_add_u32 s0, s12, s0
	s_addc_u32 s1, s13, s1
	s_load_dwordx2 s[6:7], s[0:1], 0x0
	s_load_dwordx2 s[10:11], s[4:5], 0x20
                                        ; implicit-def: $vgpr92
                                        ; implicit-def: $vgpr101
                                        ; implicit-def: $vgpr100
                                        ; implicit-def: $vgpr99
                                        ; implicit-def: $vgpr98
                                        ; implicit-def: $vgpr97
                                        ; implicit-def: $vgpr96
                                        ; implicit-def: $vgpr95
                                        ; implicit-def: $vgpr94
	s_waitcnt lgkmcnt(0)
	v_mad_u64_u32 v[1:2], s[0:1], s6, v7, v[1:2]
	s_mov_b32 s0, 0x3291620
	v_mul_lo_u32 v3, s6, v8
	v_mul_lo_u32 v4, s7, v7
	v_mul_hi_u32 v5, v0, s0
	v_cmp_gt_u64_e64 s[0:1], s[10:11], v[7:8]
	v_cmp_le_u64_e32 vcc, s[10:11], v[7:8]
	v_add3_u32 v2, v4, v2, v3
	v_mul_u32_u24_e32 v3, 0x51, v5
	v_sub_u32_e32 v88, v0, v3
	s_and_saveexec_b64 s[4:5], vcc
	s_xor_b64 s[4:5], exec, s[4:5]
; %bb.10:
	v_add_u32_e32 v92, 0x51, v88
	v_add_u32_e32 v101, 0xa2, v88
	;; [unrolled: 1-line block ×9, first 2 shown]
; %bb.11:
	s_or_saveexec_b64 s[4:5], s[4:5]
	v_lshlrev_b64 v[90:91], 4, v[1:2]
	s_xor_b64 exec, exec, s[4:5]
	s_cbranch_execz .LBB0_13
; %bb.12:
	v_mov_b32_e32 v89, 0
	v_mov_b32_e32 v0, s3
	v_add_co_u32_e32 v2, vcc, s2, v90
	v_addc_co_u32_e32 v3, vcc, v0, v91, vcc
	v_lshlrev_b64 v[0:1], 4, v[88:89]
	s_movk_i32 s6, 0x1000
	v_add_co_u32_e32 v120, vcc, v2, v0
	v_addc_co_u32_e32 v121, vcc, v3, v1, vcc
	v_add_co_u32_e32 v32, vcc, s6, v120
	v_addc_co_u32_e32 v33, vcc, 0, v121, vcc
	s_movk_i32 s6, 0x2000
	v_add_co_u32_e32 v48, vcc, s6, v120
	v_addc_co_u32_e32 v49, vcc, 0, v121, vcc
	s_movk_i32 s6, 0x3000
	;; [unrolled: 3-line block ×6, first 2 shown]
	v_add_co_u32_e32 v110, vcc, s6, v120
	v_addc_co_u32_e32 v111, vcc, 0, v121, vcc
	v_add_co_u32_e32 v122, vcc, 0x8000, v120
	v_addc_co_u32_e32 v123, vcc, 0, v121, vcc
	global_load_dwordx4 v[0:3], v[120:121], off
	global_load_dwordx4 v[4:7], v[120:121], off offset:1296
	global_load_dwordx4 v[8:11], v[120:121], off offset:2592
	;; [unrolled: 1-line block ×3, first 2 shown]
	v_add_co_u32_e32 v120, vcc, 0x9000, v120
	global_load_dwordx4 v[16:19], v[32:33], off offset:1088
	global_load_dwordx4 v[20:23], v[32:33], off offset:2384
	global_load_dwordx4 v[24:27], v[32:33], off offset:3680
	global_load_dwordx4 v[28:31], v[48:49], off offset:880
	s_nop 0
	global_load_dwordx4 v[32:35], v[48:49], off offset:2176
	global_load_dwordx4 v[36:39], v[48:49], off offset:3472
	global_load_dwordx4 v[40:43], v[64:65], off offset:672
	global_load_dwordx4 v[44:47], v[64:65], off offset:1968
	s_nop 0
	;; [unrolled: 5-line block ×4, first 2 shown]
	global_load_dwordx4 v[80:83], v[108:109], off offset:1344
	global_load_dwordx4 v[84:87], v[108:109], off offset:2640
	v_addc_co_u32_e32 v121, vcc, 0, v121, vcc
	global_load_dwordx4 v[92:95], v[108:109], off offset:3936
	global_load_dwordx4 v[96:99], v[110:111], off offset:1136
	;; [unrolled: 1-line block ×4, first 2 shown]
	s_nop 0
	global_load_dwordx4 v[108:111], v[122:123], off offset:928
	global_load_dwordx4 v[112:115], v[122:123], off offset:2224
	;; [unrolled: 1-line block ×3, first 2 shown]
	v_lshl_add_u32 v89, v88, 4, 0
	global_load_dwordx4 v[120:123], v[120:121], off offset:720
	s_waitcnt vmcnt(29)
	ds_write_b128 v89, v[0:3]
	s_waitcnt vmcnt(28)
	ds_write_b128 v89, v[4:7] offset:1296
	s_waitcnt vmcnt(27)
	ds_write_b128 v89, v[8:11] offset:2592
	;; [unrolled: 2-line block ×24, first 2 shown]
	v_add_u32_e32 v92, 0x51, v88
	v_add_u32_e32 v101, 0xa2, v88
	;; [unrolled: 1-line block ×9, first 2 shown]
	s_waitcnt vmcnt(4)
	ds_write_b128 v89, v[104:107] offset:32400
	s_waitcnt vmcnt(3)
	ds_write_b128 v89, v[108:111] offset:33696
	;; [unrolled: 2-line block ×5, first 2 shown]
.LBB0_13:
	s_or_b64 exec, exec, s[4:5]
	v_lshlrev_b32_e32 v89, 4, v88
	v_add_u32_e32 v103, 0, v89
	s_waitcnt lgkmcnt(0)
	s_barrier
	ds_read_b128 v[8:11], v103 offset:7776
	ds_read_b128 v[28:31], v103
	ds_read_b128 v[0:3], v103 offset:1296
	ds_read_b128 v[4:7], v103 offset:9072
	;; [unrolled: 1-line block ×8, first 2 shown]
	s_waitcnt lgkmcnt(8)
	v_add_f64 v[12:13], v[28:29], v[8:9]
	v_add_f64 v[22:23], v[30:31], v[10:11]
	s_waitcnt lgkmcnt(4)
	v_add_f64 v[64:65], v[18:19], v[14:15]
	v_add_f64 v[68:69], v[8:9], -v[18:19]
	v_add_f64 v[70:71], v[18:19], -v[8:9]
	v_add_f64 v[76:77], v[18:19], -v[14:15]
	v_add_f64 v[74:75], v[10:11], -v[20:21]
	v_add_f64 v[78:79], v[20:21], -v[10:11]
	v_add_f64 v[12:13], v[12:13], v[18:19]
	v_add_f64 v[26:27], v[22:23], v[20:21]
	ds_read_b128 v[22:25], v103 offset:31104
	ds_read_b128 v[56:59], v103 offset:32400
	s_waitcnt lgkmcnt(2)
	v_add_f64 v[60:61], v[36:37], v[32:33]
	v_add_f64 v[62:63], v[38:39], v[34:35]
	v_add_f64 v[66:67], v[20:21], -v[16:17]
	s_waitcnt lgkmcnt(1)
	v_add_f64 v[84:85], v[10:11], -v[24:25]
	v_add_f64 v[80:81], v[8:9], v[22:23]
	v_add_f64 v[86:87], v[8:9], -v[22:23]
	v_add_f64 v[82:83], v[10:11], v[24:25]
	v_add_f64 v[18:19], v[12:13], v[14:15]
	v_add_f64 v[104:105], v[22:23], -v[14:15]
	v_add_f64 v[112:113], v[14:15], -v[22:23]
	ds_read_b128 v[8:11], v103 offset:2592
	ds_read_b128 v[12:15], v103 offset:10368
	ds_read_b128 v[44:47], v103 offset:19440
	ds_read_b128 v[52:55], v103 offset:27216
	v_add_f64 v[72:73], v[20:21], v[16:17]
	v_add_f64 v[20:21], v[26:27], v[16:17]
	s_mov_b32 s12, 0x134454ff
	s_waitcnt lgkmcnt(1)
	v_add_f64 v[116:117], v[60:61], v[44:45]
	s_waitcnt lgkmcnt(0)
	v_add_f64 v[120:121], v[44:45], v[52:53]
	v_add_f64 v[118:119], v[62:63], v[46:47]
	ds_read_b128 v[60:63], v103 offset:34992
	v_add_f64 v[108:109], v[18:19], v[22:23]
	v_add_f64 v[128:129], v[46:47], v[54:55]
	;; [unrolled: 1-line block ×3, first 2 shown]
	ds_read_b128 v[20:23], v103 offset:33696
	s_waitcnt lgkmcnt(1)
	v_add_f64 v[132:133], v[34:35], -v[62:63]
	v_fma_f64 v[120:121], v[120:121], -0.5, v[36:37]
	s_mov_b32 s13, 0xbfee6f0e
	v_add_f64 v[122:123], v[46:47], -v[54:55]
	v_add_f64 v[124:125], v[32:33], -v[44:45]
	;; [unrolled: 1-line block ×3, first 2 shown]
	v_add_f64 v[134:135], v[32:33], v[60:61]
	v_add_f64 v[116:117], v[116:117], v[52:53]
	v_add_f64 v[32:33], v[32:33], -v[60:61]
	v_add_f64 v[118:119], v[118:119], v[54:55]
	v_add_f64 v[136:137], v[60:61], -v[52:53]
	v_fma_f64 v[128:129], v[128:129], -0.5, v[38:39]
	v_fma_f64 v[140:141], v[132:133], s[12:13], v[120:121]
	s_mov_b32 s10, 0x4755a5e
	s_mov_b32 s5, 0x3fee6f0e
	;; [unrolled: 1-line block ×4, first 2 shown]
	v_add_f64 v[44:45], v[44:45], -v[52:53]
	v_add_f64 v[130:131], v[34:35], -v[46:47]
	;; [unrolled: 1-line block ×3, first 2 shown]
	v_add_f64 v[34:35], v[34:35], v[62:63]
	v_add_f64 v[52:53], v[52:53], -v[60:61]
	v_add_f64 v[138:139], v[62:63], -v[54:55]
	;; [unrolled: 1-line block ×3, first 2 shown]
	v_add_f64 v[60:61], v[116:117], v[60:61]
	v_fma_f64 v[116:117], v[32:33], s[4:5], v[128:129]
	v_add_f64 v[124:125], v[124:125], v[136:137]
	v_fma_f64 v[136:137], v[122:123], s[10:11], v[140:141]
	v_add_f64 v[62:63], v[118:119], v[62:63]
	v_fma_f64 v[64:65], v[64:65], -0.5, v[28:29]
	v_fma_f64 v[118:119], v[72:73], -0.5, v[30:31]
	s_mov_b32 s14, 0x372fe950
	s_mov_b32 s7, 0x3fe2cf23
	;; [unrolled: 1-line block ×4, first 2 shown]
	v_add_f64 v[106:107], v[24:25], -v[16:17]
	v_add_f64 v[130:131], v[130:131], v[138:139]
	v_fma_f64 v[116:117], v[44:45], s[6:7], v[116:117]
	v_fma_f64 v[28:29], v[80:81], -0.5, v[28:29]
	v_fma_f64 v[80:81], v[124:125], s[14:15], v[136:137]
	v_fma_f64 v[30:31], v[82:83], -0.5, v[30:31]
	v_fma_f64 v[82:83], v[84:85], s[12:13], v[64:65]
	v_fma_f64 v[34:35], v[34:35], -0.5, v[38:39]
	v_fma_f64 v[38:39], v[86:87], s[4:5], v[118:119]
	v_fma_f64 v[36:37], v[134:135], -0.5, v[36:37]
	v_fma_f64 v[72:73], v[130:131], s[14:15], v[116:117]
	v_add_f64 v[134:135], v[74:75], v[106:107]
	v_mul_f64 v[116:117], v[80:81], s[6:7]
	s_mov_b32 s20, 0x9b97f4a8
	v_fma_f64 v[74:75], v[66:67], s[10:11], v[82:83]
	v_fma_f64 v[82:83], v[44:45], s[12:13], v[34:35]
	;; [unrolled: 1-line block ×3, first 2 shown]
	s_mov_b32 s21, 0x3fe9e377
	v_add_f64 v[68:69], v[68:69], v[104:105]
	v_mul_f64 v[104:105], v[72:73], s[10:11]
	v_fma_f64 v[116:117], v[72:73], s[20:21], v[116:117]
	v_fma_f64 v[138:139], v[122:123], s[4:5], v[36:37]
	v_add_f64 v[46:47], v[46:47], v[54:55]
	v_fma_f64 v[54:55], v[32:33], s[6:7], v[82:83]
	v_fma_f64 v[38:39], v[134:135], s[14:15], v[38:39]
	v_add_f64 v[106:107], v[110:111], v[62:63]
	;; [unrolled: 3-line block ×3, first 2 shown]
	v_add_f64 v[72:73], v[108:109], -v[60:61]
	v_add_f64 v[74:75], v[110:111], -v[62:63]
	v_add_f64 v[52:53], v[126:127], v[52:53]
	v_fma_f64 v[60:61], v[132:133], s[10:11], v[138:139]
	v_fma_f64 v[54:55], v[46:47], s[14:15], v[54:55]
	v_add_f64 v[110:111], v[38:39], v[116:117]
	v_add_f64 v[82:83], v[38:39], -v[116:117]
	v_fma_f64 v[38:39], v[66:67], s[4:5], v[28:29]
	v_fma_f64 v[28:29], v[66:67], s[12:13], v[28:29]
	;; [unrolled: 1-line block ×3, first 2 shown]
	v_add_f64 v[70:71], v[70:71], v[112:113]
	v_fma_f64 v[60:61], v[52:53], s[14:15], v[60:61]
	v_mul_f64 v[62:63], v[54:55], s[12:13]
	v_mul_f64 v[54:55], v[54:55], s[14:15]
	v_add_f64 v[114:115], v[16:17], -v[24:25]
	v_fma_f64 v[38:39], v[84:85], s[10:11], v[38:39]
	v_fma_f64 v[28:29], v[84:85], s[6:7], v[28:29]
	;; [unrolled: 1-line block ×13, first 2 shown]
	v_add_f64 v[78:79], v[78:79], v[114:115]
	v_fma_f64 v[36:37], v[132:133], s[6:7], v[36:37]
	v_fma_f64 v[30:31], v[76:77], s[4:5], v[30:31]
	;; [unrolled: 1-line block ×8, first 2 shown]
	s_mov_b32 s17, 0xbfd3c6ef
	s_mov_b32 s16, s14
	v_fma_f64 v[36:37], v[52:53], s[14:15], v[36:37]
	v_fma_f64 v[30:31], v[86:87], s[10:11], v[30:31]
	;; [unrolled: 1-line block ×3, first 2 shown]
	v_mul_f64 v[64:65], v[34:35], s[12:13]
	v_mul_f64 v[34:35], v[34:35], s[16:17]
	s_mov_b32 s19, 0xbfe9e377
	s_mov_b32 s18, s20
	v_fma_f64 v[44:45], v[76:77], s[10:11], v[44:45]
	v_fma_f64 v[60:61], v[124:125], s[14:15], v[60:61]
	v_mul_f64 v[66:67], v[32:33], s[10:11]
	v_mul_f64 v[32:33], v[32:33], s[18:19]
	v_fma_f64 v[30:31], v[78:79], s[14:15], v[30:31]
	v_fma_f64 v[64:65], v[36:37], s[16:17], v[64:65]
	;; [unrolled: 1-line block ×5, first 2 shown]
	v_add_f64 v[108:109], v[136:137], v[80:81]
	v_fma_f64 v[46:47], v[60:61], s[18:19], v[66:67]
	v_fma_f64 v[32:33], v[60:61], s[6:7], v[32:33]
	v_add_f64 v[112:113], v[38:39], v[62:63]
	v_add_f64 v[114:115], v[52:53], v[54:55]
	;; [unrolled: 1-line block ×4, first 2 shown]
	v_mul_u32_u24_e32 v93, 10, v88
	v_lshl_add_u32 v93, v93, 4, 0
	ds_read_b128 v[24:27], v103 offset:18144
	ds_read_b128 v[16:19], v103 offset:25920
	v_add_f64 v[116:117], v[38:39], -v[62:63]
	v_add_f64 v[118:119], v[52:53], -v[54:55]
	;; [unrolled: 1-line block ×4, first 2 shown]
	v_add_f64 v[128:129], v[36:37], v[46:47]
	v_add_f64 v[130:131], v[44:45], v[32:33]
	v_add_f64 v[132:133], v[36:37], -v[46:47]
	v_add_f64 v[134:135], v[44:45], -v[32:33]
	ds_read_b128 v[60:63], v103 offset:5184
	ds_read_b128 v[28:31], v103 offset:6480
	;; [unrolled: 1-line block ×10, first 2 shown]
	s_waitcnt lgkmcnt(0)
	s_barrier
	ds_write_b128 v93, v[104:107]
	ds_write_b128 v93, v[108:111] offset:16
	ds_write_b128 v93, v[112:115] offset:32
	;; [unrolled: 1-line block ×3, first 2 shown]
	v_add_f64 v[104:105], v[0:1], v[4:5]
	v_add_f64 v[106:107], v[2:3], v[6:7]
	v_add_f64 v[80:81], v[136:137], -v[80:81]
	ds_write_b128 v93, v[128:131] offset:64
	ds_write_b128 v93, v[72:75] offset:80
	;; [unrolled: 1-line block ×6, first 2 shown]
	v_add_f64 v[72:73], v[104:105], v[48:49]
	v_add_f64 v[74:75], v[106:107], v[50:51]
	;; [unrolled: 1-line block ×3, first 2 shown]
	v_add_f64 v[82:83], v[50:51], -v[42:43]
	v_add_f64 v[104:105], v[4:5], -v[48:49]
	v_add_f64 v[106:107], v[48:49], -v[4:5]
	v_add_f64 v[108:109], v[50:51], v[42:43]
	v_add_f64 v[110:111], v[48:49], -v[40:41]
	v_add_f64 v[48:49], v[6:7], -v[50:51]
	;; [unrolled: 1-line block ×4, first 2 shown]
	v_add_f64 v[50:51], v[4:5], v[56:57]
	v_add_f64 v[116:117], v[4:5], -v[56:57]
	v_add_f64 v[4:5], v[6:7], v[58:59]
	v_add_f64 v[6:7], v[72:73], v[40:41]
	;; [unrolled: 1-line block ×4, first 2 shown]
	v_add_f64 v[120:121], v[56:57], -v[40:41]
	v_add_f64 v[122:123], v[40:41], -v[56:57]
	v_add_f64 v[118:119], v[62:63], v[78:79]
	v_add_f64 v[40:41], v[58:59], -v[42:43]
	v_add_f64 v[124:125], v[42:43], -v[58:59]
	v_add_f64 v[6:7], v[6:7], v[56:57]
	v_add_f64 v[42:43], v[72:73], v[58:59]
	;; [unrolled: 1-line block ×5, first 2 shown]
	v_add_f64 v[130:131], v[78:79], -v[66:67]
	v_add_f64 v[58:59], v[118:119], v[86:87]
	v_add_f64 v[118:119], v[86:87], -v[70:71]
	v_add_f64 v[126:127], v[76:77], -v[84:85]
	;; [unrolled: 1-line block ×4, first 2 shown]
	v_fma_f64 v[74:75], v[74:75], -0.5, v[60:61]
	v_fma_f64 v[72:73], v[72:73], -0.5, v[62:63]
	v_add_f64 v[86:87], v[86:87], -v[78:79]
	v_add_f64 v[78:79], v[78:79], v[66:67]
	v_add_f64 v[136:137], v[64:65], -v[68:69]
	v_add_f64 v[138:139], v[66:67], -v[70:71]
	;; [unrolled: 1-line block ×4, first 2 shown]
	v_fma_f64 v[142:143], v[130:131], s[12:13], v[74:75]
	v_add_f64 v[76:77], v[76:77], v[64:65]
	v_fma_f64 v[140:141], v[132:133], s[4:5], v[72:73]
	v_add_f64 v[56:57], v[56:57], v[68:69]
	v_add_f64 v[58:59], v[58:59], v[70:71]
	;; [unrolled: 1-line block ×4, first 2 shown]
	v_fma_f64 v[80:81], v[80:81], -0.5, v[0:1]
	v_fma_f64 v[138:139], v[118:119], s[10:11], v[142:143]
	v_fma_f64 v[108:109], v[108:109], -0.5, v[2:3]
	v_fma_f64 v[62:63], v[78:79], -0.5, v[62:63]
	v_add_f64 v[68:69], v[68:69], -v[64:65]
	v_add_f64 v[70:71], v[70:71], -v[66:67]
	v_fma_f64 v[136:137], v[84:85], s[6:7], v[140:141]
	v_add_f64 v[56:57], v[56:57], v[64:65]
	v_add_f64 v[58:59], v[58:59], v[66:67]
	v_fma_f64 v[64:65], v[50:51], -0.5, v[0:1]
	v_fma_f64 v[50:51], v[126:127], s[14:15], v[138:139]
	v_fma_f64 v[66:67], v[114:115], s[12:13], v[80:81]
	;; [unrolled: 1-line block ×3, first 2 shown]
	v_fma_f64 v[60:61], v[76:77], -0.5, v[60:61]
	v_add_f64 v[76:77], v[104:105], v[120:121]
	v_fma_f64 v[104:105], v[84:85], s[12:13], v[62:63]
	v_fma_f64 v[0:1], v[134:135], s[14:15], v[136:137]
	v_add_f64 v[120:121], v[48:49], v[40:41]
	v_mul_f64 v[48:49], v[50:51], s[6:7]
	v_fma_f64 v[66:67], v[82:83], s[10:11], v[66:67]
	v_fma_f64 v[78:79], v[110:111], s[6:7], v[78:79]
	v_add_f64 v[70:71], v[86:87], v[70:71]
	v_fma_f64 v[86:87], v[118:119], s[4:5], v[60:61]
	v_fma_f64 v[104:105], v[132:133], s[6:7], v[104:105]
	v_mul_f64 v[40:41], v[0:1], s[10:11]
	v_add_f64 v[68:69], v[128:129], v[68:69]
	v_fma_f64 v[138:139], v[0:1], s[20:21], v[48:49]
	v_fma_f64 v[48:49], v[76:77], s[14:15], v[66:67]
	;; [unrolled: 1-line block ×3, first 2 shown]
	v_fma_f64 v[136:137], v[4:5], -0.5, v[2:3]
	v_fma_f64 v[78:79], v[130:131], s[10:11], v[86:87]
	v_fma_f64 v[86:87], v[70:71], s[14:15], v[104:105]
	;; [unrolled: 1-line block ×3, first 2 shown]
	v_add_f64 v[0:1], v[6:7], v[56:57]
	v_add_f64 v[2:3], v[42:43], v[58:59]
	v_add_f64 v[4:5], v[6:7], -v[56:57]
	v_add_f64 v[6:7], v[42:43], -v[58:59]
	v_add_f64 v[42:43], v[66:67], v[138:139]
	v_fma_f64 v[56:57], v[68:69], s[14:15], v[78:79]
	v_mul_f64 v[58:59], v[86:87], s[12:13]
	v_fma_f64 v[78:79], v[82:83], s[4:5], v[64:65]
	v_fma_f64 v[64:65], v[82:83], s[12:13], v[64:65]
	v_mul_f64 v[86:87], v[86:87], s[14:15]
	v_add_f64 v[40:41], v[48:49], v[50:51]
	v_add_f64 v[48:49], v[48:49], -v[50:51]
	v_add_f64 v[50:51], v[66:67], -v[138:139]
	v_add_f64 v[66:67], v[106:107], v[122:123]
	v_add_f64 v[104:105], v[112:113], v[124:125]
	v_fma_f64 v[106:107], v[56:57], s[14:15], v[58:59]
	v_fma_f64 v[58:59], v[84:85], s[4:5], v[62:63]
	v_fma_f64 v[62:63], v[114:115], s[10:11], v[78:79]
	v_fma_f64 v[78:79], v[110:111], s[12:13], v[136:137]
	v_fma_f64 v[112:113], v[110:111], s[4:5], v[136:137]
	v_fma_f64 v[64:65], v[114:115], s[6:7], v[64:65]
	v_fma_f64 v[86:87], v[56:57], s[4:5], v[86:87]
	v_fma_f64 v[56:57], v[132:133], s[12:13], v[72:73]
	v_fma_f64 v[60:61], v[118:119], s[12:13], v[60:61]
	v_fma_f64 v[58:59], v[132:133], s[10:11], v[58:59]
	v_fma_f64 v[62:63], v[66:67], s[14:15], v[62:63]
	v_fma_f64 v[72:73], v[116:117], s[6:7], v[78:79]
	v_fma_f64 v[78:79], v[116:117], s[10:11], v[112:113]
	v_fma_f64 v[112:113], v[66:67], s[14:15], v[64:65]
	v_fma_f64 v[64:65], v[130:131], s[4:5], v[74:75]
	v_fma_f64 v[56:57], v[84:85], s[10:11], v[56:57]
	v_fma_f64 v[60:61], v[130:131], s[6:7], v[60:61]
	v_fma_f64 v[58:59], v[70:71], s[14:15], v[58:59]
	v_fma_f64 v[66:67], v[114:115], s[4:5], v[80:81]
	v_fma_f64 v[70:71], v[104:105], s[14:15], v[72:73]
	v_fma_f64 v[72:73], v[104:105], s[14:15], v[78:79]
	v_add_f64 v[104:105], v[8:9], v[12:13]
	v_fma_f64 v[64:65], v[118:119], s[6:7], v[64:65]
	v_fma_f64 v[74:75], v[134:135], s[14:15], v[56:57]
	v_fma_f64 v[60:61], v[68:69], s[14:15], v[60:61]
	v_fma_f64 v[68:69], v[116:117], s[12:13], v[108:109]
	v_mul_f64 v[78:79], v[58:59], s[12:13]
	v_mul_f64 v[80:81], v[58:59], s[16:17]
	v_fma_f64 v[66:67], v[82:83], s[6:7], v[66:67]
	v_add_f64 v[56:57], v[62:63], v[106:107]
	v_fma_f64 v[64:65], v[126:127], s[14:15], v[64:65]
	v_mul_f64 v[82:83], v[74:75], s[10:11]
	v_mul_f64 v[74:75], v[74:75], s[18:19]
	v_fma_f64 v[68:69], v[110:111], s[10:11], v[68:69]
	v_fma_f64 v[78:79], v[60:61], s[16:17], v[78:79]
	;; [unrolled: 1-line block ×3, first 2 shown]
	v_add_f64 v[60:61], v[62:63], -v[106:107]
	v_fma_f64 v[76:77], v[76:77], s[14:15], v[66:67]
	v_add_f64 v[106:107], v[10:11], v[14:15]
	v_fma_f64 v[82:83], v[64:65], s[18:19], v[82:83]
	v_add_f64 v[58:59], v[70:71], v[86:87]
	v_add_f64 v[62:63], v[70:71], -v[86:87]
	v_fma_f64 v[84:85], v[120:121], s[14:15], v[68:69]
	v_fma_f64 v[86:87], v[64:65], s[6:7], v[74:75]
	v_add_f64 v[66:67], v[72:73], v[80:81]
	v_add_f64 v[70:71], v[72:73], -v[80:81]
	v_add_f64 v[80:81], v[104:105], v[24:25]
	v_add_f64 v[72:73], v[76:77], v[82:83]
	v_add_f64 v[76:77], v[76:77], -v[82:83]
	v_add_f64 v[82:83], v[106:107], v[26:27]
	;; [unrolled: 3-line block ×3, first 2 shown]
	v_add_f64 v[78:79], v[84:85], -v[86:87]
	v_add_f64 v[86:87], v[26:27], -v[18:19]
	;; [unrolled: 1-line block ×4, first 2 shown]
	v_add_f64 v[108:109], v[26:27], v[18:19]
	v_add_f64 v[110:111], v[14:15], -v[26:27]
	v_add_f64 v[26:27], v[26:27], -v[14:15]
	;; [unrolled: 1-line block ×3, first 2 shown]
	v_add_f64 v[114:115], v[12:13], v[20:21]
	v_add_f64 v[116:117], v[12:13], -v[20:21]
	v_add_f64 v[12:13], v[14:15], v[22:23]
	v_add_f64 v[14:15], v[80:81], v[16:17]
	;; [unrolled: 1-line block ×5, first 2 shown]
	v_add_f64 v[24:25], v[24:25], -v[16:17]
	v_add_f64 v[120:121], v[20:21], -v[16:17]
	;; [unrolled: 1-line block ×5, first 2 shown]
	v_add_f64 v[14:15], v[14:15], v[20:21]
	v_add_f64 v[18:19], v[80:81], v[22:23]
	;; [unrolled: 1-line block ×6, first 2 shown]
	v_add_f64 v[132:133], v[46:47], -v[34:35]
	v_add_f64 v[134:135], v[44:45], -v[32:33]
	;; [unrolled: 1-line block ×5, first 2 shown]
	v_fma_f64 v[80:81], v[80:81], -0.5, v[28:29]
	v_fma_f64 v[82:83], v[82:83], -0.5, v[30:31]
	v_add_f64 v[22:23], v[118:119], v[54:55]
	v_add_f64 v[118:119], v[54:55], -v[38:39]
	v_add_f64 v[130:131], v[46:47], -v[54:55]
	v_add_f64 v[20:21], v[20:21], v[36:37]
	v_add_f64 v[136:137], v[32:33], -v[36:37]
	v_add_f64 v[138:139], v[34:35], -v[38:39]
	v_fma_f64 v[142:143], v[132:133], s[12:13], v[80:81]
	v_fma_f64 v[140:141], v[134:135], s[4:5], v[82:83]
	v_add_f64 v[54:55], v[54:55], -v[46:47]
	v_add_f64 v[44:45], v[44:45], v[32:33]
	v_add_f64 v[46:47], v[46:47], v[34:35]
	;; [unrolled: 1-line block ×3, first 2 shown]
	v_add_f64 v[36:37], v[36:37], -v[32:33]
	v_add_f64 v[20:21], v[20:21], v[32:33]
	v_add_f64 v[32:33], v[126:127], v[136:137]
	;; [unrolled: 1-line block ×3, first 2 shown]
	v_fma_f64 v[130:131], v[52:53], s[6:7], v[140:141]
	v_fma_f64 v[136:137], v[118:119], s[10:11], v[142:143]
	v_fma_f64 v[84:85], v[84:85], -0.5, v[8:9]
	v_fma_f64 v[108:109], v[108:109], -0.5, v[10:11]
	v_add_f64 v[38:39], v[38:39], -v[34:35]
	v_add_f64 v[22:23], v[22:23], v[34:35]
	v_fma_f64 v[34:35], v[114:115], -0.5, v[8:9]
	v_fma_f64 v[114:115], v[12:13], -0.5, v[10:11]
	;; [unrolled: 1-line block ×3, first 2 shown]
	v_fma_f64 v[10:11], v[126:127], s[14:15], v[130:131]
	v_fma_f64 v[12:13], v[32:33], s[14:15], v[136:137]
	;; [unrolled: 1-line block ×4, first 2 shown]
	v_fma_f64 v[28:29], v[44:45], -0.5, v[28:29]
	v_add_f64 v[44:45], v[104:105], v[120:121]
	v_add_f64 v[104:105], v[110:111], v[16:17]
	v_fma_f64 v[16:17], v[52:53], s[12:13], v[30:31]
	v_mul_f64 v[110:111], v[10:11], s[10:11]
	v_mul_f64 v[120:121], v[12:13], s[6:7]
	v_fma_f64 v[130:131], v[86:87], s[10:11], v[8:9]
	v_fma_f64 v[46:47], v[24:25], s[6:7], v[46:47]
	v_add_f64 v[38:39], v[54:55], v[38:39]
	v_add_f64 v[8:9], v[14:15], v[20:21]
	v_fma_f64 v[82:83], v[134:135], s[12:13], v[82:83]
	v_fma_f64 v[16:17], v[134:135], s[6:7], v[16:17]
	;; [unrolled: 1-line block ×6, first 2 shown]
	v_add_f64 v[12:13], v[14:15], -v[20:21]
	v_add_f64 v[10:11], v[18:19], v[22:23]
	v_add_f64 v[14:15], v[18:19], -v[22:23]
	v_fma_f64 v[130:131], v[38:39], s[14:15], v[16:17]
	v_fma_f64 v[136:137], v[118:119], s[4:5], v[28:29]
	;; [unrolled: 1-line block ×3, first 2 shown]
	v_add_f64 v[16:17], v[120:121], v[54:55]
	v_add_f64 v[20:21], v[120:121], -v[54:55]
	v_fma_f64 v[120:121], v[86:87], s[4:5], v[34:35]
	v_fma_f64 v[34:35], v[86:87], s[12:13], v[34:35]
	v_add_f64 v[18:19], v[46:47], v[110:111]
	v_add_f64 v[22:23], v[46:47], -v[110:111]
	v_add_f64 v[46:47], v[106:107], v[122:123]
	v_add_f64 v[106:107], v[26:27], v[124:125]
	v_fma_f64 v[26:27], v[52:53], s[4:5], v[30:31]
	v_fma_f64 v[52:53], v[52:53], s[10:11], v[82:83]
	v_fma_f64 v[30:31], v[112:113], s[10:11], v[120:121]
	v_fma_f64 v[34:35], v[112:113], s[6:7], v[34:35]
	v_add_f64 v[36:37], v[128:129], v[36:37]
	v_fma_f64 v[128:129], v[132:133], s[10:11], v[136:137]
	v_fma_f64 v[120:121], v[24:25], s[12:13], v[114:115]
	;; [unrolled: 1-line block ×10, first 2 shown]
	v_mul_f64 v[128:129], v[130:131], s[12:13]
	v_fma_f64 v[26:27], v[38:39], s[14:15], v[26:27]
	v_fma_f64 v[38:39], v[112:113], s[4:5], v[84:85]
	;; [unrolled: 1-line block ×3, first 2 shown]
	v_mul_f64 v[130:131], v[130:131], s[14:15]
	v_fma_f64 v[34:35], v[118:119], s[6:7], v[34:35]
	v_fma_f64 v[80:81], v[116:117], s[6:7], v[120:121]
	v_fma_f64 v[82:83], v[116:117], s[10:11], v[114:115]
	v_fma_f64 v[28:29], v[36:37], s[14:15], v[28:29]
	v_mul_f64 v[36:37], v[26:27], s[12:13]
	v_mul_f64 v[108:109], v[26:27], s[16:17]
	v_fma_f64 v[38:39], v[86:87], s[6:7], v[38:39]
	v_fma_f64 v[84:85], v[24:25], s[10:11], v[84:85]
	;; [unrolled: 1-line block ×3, first 2 shown]
	v_mul_f64 v[34:35], v[52:53], s[10:11]
	v_mul_f64 v[52:53], v[52:53], s[18:19]
	v_fma_f64 v[110:111], v[54:55], s[14:15], v[128:129]
	v_fma_f64 v[54:55], v[54:55], s[4:5], v[130:131]
	;; [unrolled: 1-line block ×10, first 2 shown]
	v_add_f64 v[24:25], v[30:31], v[110:111]
	v_add_f64 v[26:27], v[80:81], v[54:55]
	;; [unrolled: 1-line block ×4, first 2 shown]
	v_add_f64 v[28:29], v[30:31], -v[110:111]
	v_add_f64 v[30:31], v[80:81], -v[54:55]
	v_add_f64 v[52:53], v[44:45], v[104:105]
	v_add_f64 v[54:55], v[84:85], v[106:107]
	v_add_f64 v[80:81], v[44:45], -v[104:105]
	v_mul_i32_i24_e32 v44, 10, v92
	v_add_f64 v[36:37], v[46:47], -v[36:37]
	v_lshl_add_u32 v47, v44, 4, 0
	ds_write_b128 v47, v[0:3]
	ds_write_b128 v47, v[40:43] offset:16
	ds_write_b128 v47, v[56:59] offset:32
	;; [unrolled: 1-line block ×9, first 2 shown]
	v_mul_i32_i24_e32 v0, 10, v101
	s_movk_i32 s4, 0xcd
	v_lshl_add_u32 v46, v0, 4, 0
	v_mul_lo_u16_sdwa v0, v88, s4 dst_sel:DWORD dst_unused:UNUSED_PAD src0_sel:BYTE_0 src1_sel:DWORD
	v_add_f64 v[38:39], v[82:83], -v[86:87]
	v_add_f64 v[82:83], v[84:85], -v[106:107]
	ds_write_b128 v46, v[8:11]
	ds_write_b128 v46, v[16:19] offset:16
	ds_write_b128 v46, v[24:27] offset:32
	;; [unrolled: 1-line block ×9, first 2 shown]
	v_lshrrev_b16_e32 v29, 11, v0
	v_mul_lo_u16_e32 v0, 10, v29
	v_sub_u16_e32 v30, v88, v0
	v_mov_b32_e32 v18, 5
	v_lshlrev_b32_sdwa v8, v18, v30 dst_sel:DWORD dst_unused:UNUSED_PAD src0_sel:DWORD src1_sel:BYTE_0
	s_waitcnt lgkmcnt(0)
	s_barrier
	global_load_dwordx4 v[0:3], v8, s[8:9]
	global_load_dwordx4 v[4:7], v8, s[8:9] offset:16
	v_mul_lo_u16_sdwa v8, v92, s4 dst_sel:DWORD dst_unused:UNUSED_PAD src0_sel:BYTE_0 src1_sel:DWORD
	v_lshrrev_b16_e32 v28, 11, v8
	v_mul_lo_u16_e32 v8, 10, v28
	v_sub_u16_e32 v27, v92, v8
	v_lshlrev_b32_sdwa v16, v18, v27 dst_sel:DWORD dst_unused:UNUSED_PAD src0_sel:DWORD src1_sel:BYTE_0
	global_load_dwordx4 v[8:11], v16, s[8:9]
	global_load_dwordx4 v[12:15], v16, s[8:9] offset:16
	v_mul_lo_u16_sdwa v16, v101, s4 dst_sel:DWORD dst_unused:UNUSED_PAD src0_sel:BYTE_0 src1_sel:DWORD
	v_lshrrev_b16_e32 v26, 11, v16
	v_mul_lo_u16_e32 v16, 10, v26
	v_sub_u16_e32 v25, v101, v16
	v_lshlrev_b32_sdwa v16, v18, v25 dst_sel:DWORD dst_unused:UNUSED_PAD src0_sel:DWORD src1_sel:BYTE_0
	s_mov_b32 s4, 0xcccd
	global_load_dwordx4 v[39:42], v16, s[8:9]
	global_load_dwordx4 v[48:51], v16, s[8:9] offset:16
	v_mul_u32_u24_sdwa v16, v100, s4 dst_sel:DWORD dst_unused:UNUSED_PAD src0_sel:WORD_0 src1_sel:DWORD
	v_lshrrev_b32_e32 v23, 19, v16
	v_mul_lo_u16_e32 v16, 10, v23
	v_sub_u16_e32 v24, v100, v16
	v_lshlrev_b32_e32 v16, 5, v24
	global_load_dwordx4 v[52:55], v16, s[8:9]
	global_load_dwordx4 v[56:59], v16, s[8:9] offset:16
	v_mul_u32_u24_sdwa v16, v99, s4 dst_sel:DWORD dst_unused:UNUSED_PAD src0_sel:WORD_0 src1_sel:DWORD
	v_lshrrev_b32_e32 v22, 19, v16
	v_mul_lo_u16_e32 v16, 10, v22
	v_sub_u16_e32 v21, v99, v16
	v_lshlrev_b32_e32 v16, 5, v21
	;; [unrolled: 7-line block ×4, first 2 shown]
	ds_read_b128 v[68:71], v103 offset:12960
	ds_read_b128 v[76:79], v103
	ds_read_b128 v[80:83], v103 offset:14256
	global_load_dwordx4 v[104:107], v31, s[8:9]
	global_load_dwordx4 v[108:111], v31, s[8:9] offset:16
	v_mul_u32_u24_sdwa v31, v96, s4 dst_sel:DWORD dst_unused:UNUSED_PAD src0_sel:WORD_0 src1_sel:DWORD
	v_lshrrev_b32_e32 v35, 19, v31
	v_mul_lo_u16_e32 v31, 10, v35
	v_sub_u16_e32 v36, v96, v31
	ds_read_b128 v[112:115], v103 offset:25920
	ds_read_b128 v[120:123], v103 offset:24624
	v_lshlrev_b32_e32 v33, 5, v36
	global_load_dwordx4 v[116:119], v33, s[8:9]
	global_load_dwordx4 v[128:131], v33, s[8:9] offset:16
	v_mul_u32_u24_sdwa v33, v95, s4 dst_sel:DWORD dst_unused:UNUSED_PAD src0_sel:WORD_0 src1_sel:DWORD
	v_lshrrev_b32_e32 v34, 19, v33
	v_mul_lo_u16_e32 v33, 10, v34
	v_sub_u16_e32 v33, v95, v33
	v_lshlrev_b32_e32 v45, 5, v33
	global_load_dwordx4 v[132:135], v45, s[8:9]
	ds_read_b128 v[124:127], v103 offset:15552
	v_mul_u32_u24_e32 v29, 0x1e0, v29
	s_mov_b32 s7, 0x3febb67a
	s_movk_i32 s10, 0xff70
	v_mul_u32_u24_e32 v26, 0x1e0, v26
	v_mul_u32_u24_e32 v23, 0x1e0, v23
	v_lshlrev_b32_e32 v24, 4, v24
	v_mul_u32_u24_e32 v22, 0x1e0, v22
	v_lshlrev_b32_e32 v21, 4, v21
	s_movk_i32 s11, 0x1000
	s_movk_i32 s12, 0x795d
	s_waitcnt vmcnt(16) lgkmcnt(5)
	v_mul_f64 v[16:17], v[70:71], v[2:3]
	v_mul_f64 v[2:3], v[68:69], v[2:3]
	s_waitcnt vmcnt(15) lgkmcnt(2)
	v_mul_f64 v[31:32], v[114:115], v[6:7]
	v_mul_f64 v[6:7], v[112:113], v[6:7]
	s_waitcnt vmcnt(14)
	v_mul_f64 v[43:44], v[82:83], v[10:11]
	v_mul_f64 v[10:11], v[80:81], v[10:11]
	v_fma_f64 v[140:141], v[68:69], v[0:1], v[16:17]
	v_fma_f64 v[142:143], v[70:71], v[0:1], -v[2:3]
	v_mul_u32_u24_sdwa v0, v94, s4 dst_sel:DWORD dst_unused:UNUSED_PAD src0_sel:WORD_0 src1_sel:DWORD
	v_fma_f64 v[144:145], v[112:113], v[4:5], v[31:32]
	v_lshrrev_b32_e32 v31, 19, v0
	v_mul_lo_u16_e32 v0, 10, v31
	v_sub_u16_e32 v32, v94, v0
	v_lshlrev_b32_e32 v16, 5, v32
	global_load_dwordx4 v[68:71], v45, s[8:9] offset:16
	global_load_dwordx4 v[136:139], v16, s[8:9]
	v_fma_f64 v[146:147], v[114:115], v[4:5], -v[6:7]
	global_load_dwordx4 v[112:115], v16, s[8:9] offset:16
	ds_read_b128 v[0:3], v103 offset:27216
	ds_read_b128 v[4:7], v103 offset:28512
	v_fma_f64 v[148:149], v[80:81], v[8:9], v[43:44]
	v_fma_f64 v[150:151], v[82:83], v[8:9], -v[10:11]
	ds_read_b128 v[8:11], v103 offset:16848
	s_waitcnt vmcnt(16) lgkmcnt(2)
	v_mul_f64 v[16:17], v[2:3], v[14:15]
	v_mul_f64 v[14:15], v[0:1], v[14:15]
	s_waitcnt vmcnt(14) lgkmcnt(1)
	v_mul_f64 v[156:157], v[6:7], v[50:51]
	v_mul_f64 v[50:51], v[4:5], v[50:51]
	;; [unrolled: 1-line block ×4, first 2 shown]
	s_mov_b32 s4, 0xe8584caa
	s_mov_b32 s5, 0xbfebb67a
	v_fma_f64 v[158:159], v[0:1], v[12:13], v[16:17]
	v_fma_f64 v[160:161], v[2:3], v[12:13], -v[14:15]
	ds_read_b128 v[0:3], v103 offset:29808
	ds_read_b128 v[41:44], v103 offset:18144
	s_waitcnt vmcnt(13) lgkmcnt(2)
	v_mul_f64 v[12:13], v[10:11], v[54:55]
	v_mul_f64 v[16:17], v[8:9], v[54:55]
	v_fma_f64 v[156:157], v[4:5], v[48:49], v[156:157]
	s_waitcnt vmcnt(12) lgkmcnt(1)
	v_mul_f64 v[54:55], v[2:3], v[58:59]
	v_fma_f64 v[162:163], v[6:7], v[48:49], -v[50:51]
	ds_read_b128 v[48:51], v103 offset:19440
	ds_read_b128 v[80:83], v103 offset:31104
	v_fma_f64 v[152:153], v[124:125], v[39:40], v[152:153]
	v_fma_f64 v[154:155], v[126:127], v[39:40], -v[154:155]
	ds_read_b128 v[124:127], v103 offset:20736
	v_fma_f64 v[14:15], v[8:9], v[52:53], v[12:13]
	v_mul_f64 v[4:5], v[0:1], v[58:59]
	v_fma_f64 v[12:13], v[0:1], v[56:57], v[54:55]
	s_waitcnt vmcnt(11) lgkmcnt(3)
	v_mul_f64 v[0:1], v[43:44], v[62:63]
	s_waitcnt vmcnt(9) lgkmcnt(2)
	v_mul_f64 v[54:55], v[50:51], v[74:75]
	v_mul_f64 v[6:7], v[41:42], v[62:63]
	s_waitcnt lgkmcnt(1)
	v_mul_f64 v[39:40], v[82:83], v[66:67]
	v_mul_f64 v[58:59], v[48:49], v[74:75]
	v_fma_f64 v[16:17], v[10:11], v[52:53], -v[16:17]
	v_mul_f64 v[52:53], v[80:81], v[66:67]
	v_fma_f64 v[164:165], v[2:3], v[56:57], -v[4:5]
	v_fma_f64 v[8:9], v[41:42], v[60:61], v[0:1]
	v_fma_f64 v[0:1], v[48:49], v[72:73], v[54:55]
	v_lshl_add_u32 v54, v100, 4, 0
	v_fma_f64 v[10:11], v[43:44], v[60:61], -v[6:7]
	v_fma_f64 v[4:5], v[80:81], v[64:65], v[39:40]
	ds_read_b128 v[39:42], v103 offset:32400
	v_fma_f64 v[2:3], v[50:51], v[72:73], -v[58:59]
	ds_read_b128 v[59:62], v54
	ds_read_b128 v[48:51], v103 offset:33696
	v_fma_f64 v[6:7], v[82:83], v[64:65], -v[52:53]
	ds_read_b128 v[55:58], v103 offset:22032
	ds_read_b128 v[63:66], v103 offset:34992
	s_waitcnt vmcnt(8) lgkmcnt(4)
	v_mul_f64 v[43:44], v[41:42], v[86:87]
	v_mul_f64 v[52:53], v[39:40], v[86:87]
	s_waitcnt vmcnt(7)
	v_mul_f64 v[80:81], v[126:127], v[106:107]
	v_mul_f64 v[82:83], v[124:125], v[106:107]
	s_waitcnt vmcnt(6) lgkmcnt(2)
	v_mul_f64 v[86:87], v[50:51], v[110:111]
	v_mul_f64 v[106:107], v[48:49], v[110:111]
	s_waitcnt vmcnt(5) lgkmcnt(1)
	v_mul_f64 v[110:111], v[57:58], v[118:119]
	ds_read_b128 v[72:75], v103 offset:23328
	v_fma_f64 v[43:44], v[39:40], v[84:85], v[43:44]
	v_fma_f64 v[166:167], v[41:42], v[84:85], -v[52:53]
	v_mul_f64 v[52:53], v[55:56], v[118:119]
	ds_read_b128 v[39:42], v103 offset:36288
	v_fma_f64 v[124:125], v[124:125], v[104:105], v[80:81]
	v_fma_f64 v[126:127], v[126:127], v[104:105], -v[82:83]
	v_fma_f64 v[172:173], v[55:56], v[116:117], v[110:111]
	s_waitcnt vmcnt(4) lgkmcnt(2)
	v_mul_f64 v[55:56], v[65:66], v[130:131]
	v_fma_f64 v[168:169], v[48:49], v[108:109], v[86:87]
	v_fma_f64 v[170:171], v[50:51], v[108:109], -v[106:107]
	ds_read_b128 v[48:51], v103 offset:37584
	v_mul_f64 v[80:81], v[63:64], v[130:131]
	s_waitcnt vmcnt(3) lgkmcnt(2)
	v_mul_f64 v[82:83], v[74:75], v[134:135]
	v_mul_f64 v[84:85], v[72:73], v[134:135]
	v_fma_f64 v[130:131], v[57:58], v[116:117], -v[52:53]
	v_fma_f64 v[134:135], v[63:64], v[128:129], v[55:56]
	v_add_f64 v[63:64], v[142:143], v[146:147]
	v_add_f64 v[57:58], v[140:141], v[144:145]
	s_mov_b32 s6, s4
	v_fma_f64 v[128:129], v[65:66], v[128:129], -v[80:81]
	s_waitcnt vmcnt(2) lgkmcnt(1)
	v_mul_f64 v[86:87], v[41:42], v[70:71]
	v_mul_f64 v[52:53], v[39:40], v[70:71]
	s_waitcnt vmcnt(1)
	v_mul_f64 v[55:56], v[122:123], v[138:139]
	v_fma_f64 v[174:175], v[72:73], v[132:133], v[82:83]
	v_fma_f64 v[132:133], v[74:75], v[132:133], -v[84:85]
	v_fma_f64 v[176:177], v[39:40], v[68:69], v[86:87]
	v_mul_f64 v[39:40], v[120:121], v[138:139]
	v_fma_f64 v[138:139], v[41:42], v[68:69], -v[52:53]
	s_waitcnt vmcnt(0) lgkmcnt(0)
	v_mul_f64 v[41:42], v[50:51], v[114:115]
	v_mul_f64 v[52:53], v[48:49], v[114:115]
	v_fma_f64 v[120:121], v[120:121], v[136:137], v[55:56]
	v_add_f64 v[55:56], v[78:79], v[142:143]
	v_fma_f64 v[122:123], v[122:123], v[136:137], -v[39:40]
	v_add_f64 v[39:40], v[76:77], v[140:141]
	v_fma_f64 v[136:137], v[48:49], v[112:113], v[41:42]
	v_fma_f64 v[178:179], v[50:51], v[112:113], -v[52:53]
	v_fma_f64 v[50:51], v[63:64], -0.5, v[78:79]
	v_add_f64 v[41:42], v[55:56], v[146:147]
	v_add_f64 v[55:56], v[140:141], -v[144:145]
	v_fma_f64 v[48:49], v[57:58], -0.5, v[76:77]
	v_add_f64 v[52:53], v[142:143], -v[146:147]
	v_mov_b32_e32 v58, 4
	v_lshlrev_b32_sdwa v30, v58, v30 dst_sel:DWORD dst_unused:UNUSED_PAD src0_sel:DWORD src1_sel:BYTE_0
	v_add3_u32 v45, 0, v29, v30
	v_add_f64 v[29:30], v[148:149], v[158:159]
	v_add_f64 v[140:141], v[150:151], v[160:161]
	v_fma_f64 v[65:66], v[55:56], s[6:7], v[50:51]
	v_fma_f64 v[69:70], v[55:56], s[4:5], v[50:51]
	v_mad_i32_i24 v56, v92, s10, v47
	v_fma_f64 v[63:64], v[52:53], s[4:5], v[48:49]
	v_fma_f64 v[67:68], v[52:53], s[6:7], v[48:49]
	v_mad_i32_i24 v55, v101, s10, v46
	v_lshl_add_u32 v53, v99, 4, 0
	v_lshl_add_u32 v52, v98, 4, 0
	ds_read_b128 v[71:74], v56
	ds_read_b128 v[75:78], v55
	;; [unrolled: 1-line block ×4, first 2 shown]
	v_add_f64 v[39:40], v[39:40], v[144:145]
	s_waitcnt lgkmcnt(3)
	v_fma_f64 v[29:30], v[29:30], -0.5, v[71:72]
	v_add_f64 v[142:143], v[73:74], v[150:151]
	v_add_f64 v[71:72], v[71:72], v[148:149]
	v_add_f64 v[144:145], v[150:151], -v[160:161]
	v_fma_f64 v[73:74], v[140:141], -0.5, v[73:74]
	v_add_f64 v[140:141], v[148:149], -v[158:159]
	v_lshl_add_u32 v51, v97, 4, 0
	v_lshl_add_u32 v50, v96, 4, 0
	v_lshl_add_u32 v49, v95, 4, 0
	v_lshl_add_u32 v48, v94, 4, 0
	ds_read_b128 v[104:107], v51
	ds_read_b128 v[108:111], v50
	ds_read_b128 v[112:115], v49
	ds_read_b128 v[116:119], v48
	s_waitcnt lgkmcnt(0)
	s_barrier
	ds_write_b128 v45, v[39:42]
	ds_write_b128 v45, v[63:66] offset:160
	ds_write_b128 v45, v[67:70] offset:320
	v_add_f64 v[41:42], v[142:143], v[160:161]
	v_add_f64 v[39:40], v[71:72], v[158:159]
	v_fma_f64 v[63:64], v[144:145], s[4:5], v[29:30]
	v_add_f64 v[71:72], v[152:153], v[156:157]
	v_fma_f64 v[67:68], v[144:145], s[6:7], v[29:30]
	v_fma_f64 v[65:66], v[140:141], s[6:7], v[73:74]
	v_mul_u32_u24_e32 v30, 0x1e0, v28
	v_add_f64 v[28:29], v[154:155], v[162:163]
	v_fma_f64 v[69:70], v[140:141], s[4:5], v[73:74]
	v_lshlrev_b32_sdwa v27, v58, v27 dst_sel:DWORD dst_unused:UNUSED_PAD src0_sel:DWORD src1_sel:BYTE_0
	v_add3_u32 v27, 0, v30, v27
	v_fma_f64 v[71:72], v[71:72], -0.5, v[75:76]
	v_add_f64 v[73:74], v[77:78], v[154:155]
	v_add_f64 v[75:76], v[75:76], v[152:153]
	v_add_f64 v[140:141], v[154:155], -v[162:163]
	ds_write_b128 v27, v[39:42]
	v_fma_f64 v[77:78], v[28:29], -0.5, v[77:78]
	v_add_f64 v[142:143], v[152:153], -v[156:157]
	ds_write_b128 v27, v[63:66] offset:160
	ds_write_b128 v27, v[67:70] offset:320
	v_add_f64 v[67:68], v[14:15], v[12:13]
	v_lshlrev_b32_sdwa v25, v58, v25 dst_sel:DWORD dst_unused:UNUSED_PAD src0_sel:DWORD src1_sel:BYTE_0
	v_add_f64 v[29:30], v[73:74], v[162:163]
	v_add_f64 v[27:28], v[75:76], v[156:157]
	v_fma_f64 v[39:40], v[140:141], s[4:5], v[71:72]
	v_add_f64 v[69:70], v[16:17], v[164:165]
	v_fma_f64 v[41:42], v[142:143], s[6:7], v[77:78]
	v_add3_u32 v45, 0, v26, v25
	v_fma_f64 v[67:68], v[67:68], -0.5, v[59:60]
	v_add_f64 v[25:26], v[61:62], v[16:17]
	v_add_f64 v[16:17], v[16:17], -v[164:165]
	v_fma_f64 v[63:64], v[140:141], s[6:7], v[71:72]
	v_fma_f64 v[65:66], v[142:143], s[4:5], v[77:78]
	v_add_f64 v[59:60], v[59:60], v[14:15]
	ds_write_b128 v45, v[27:30]
	v_fma_f64 v[29:30], v[69:70], -0.5, v[61:62]
	v_add_f64 v[61:62], v[14:15], -v[12:13]
	ds_write_b128 v45, v[39:42] offset:160
	ds_write_b128 v45, v[63:66] offset:320
	v_add_f64 v[14:15], v[25:26], v[164:165]
	v_fma_f64 v[25:26], v[16:17], s[4:5], v[67:68]
	v_fma_f64 v[39:40], v[16:17], s[6:7], v[67:68]
	v_add_f64 v[16:17], v[10:11], v[6:7]
	v_add_f64 v[12:13], v[59:60], v[12:13]
	;; [unrolled: 1-line block ×3, first 2 shown]
	v_add_f64 v[63:64], v[8:9], -v[4:5]
	v_fma_f64 v[27:28], v[61:62], s[6:7], v[29:30]
	v_fma_f64 v[41:42], v[61:62], s[4:5], v[29:30]
	v_add3_u32 v45, 0, v23, v24
	v_add_f64 v[29:30], v[81:82], v[10:11]
	v_fma_f64 v[16:17], v[16:17], -0.5, v[81:82]
	v_add_f64 v[61:62], v[10:11], -v[6:7]
	v_fma_f64 v[23:24], v[59:60], -0.5, v[79:80]
	v_add_f64 v[59:60], v[79:80], v[8:9]
	ds_write_b128 v45, v[12:15]
	ds_write_b128 v45, v[25:28] offset:160
	ds_write_b128 v45, v[39:42] offset:320
	v_add_f64 v[25:26], v[0:1], v[43:44]
	v_add3_u32 v39, 0, v22, v21
	v_add_f64 v[6:7], v[29:30], v[6:7]
	v_fma_f64 v[10:11], v[63:64], s[6:7], v[16:17]
	v_fma_f64 v[14:15], v[63:64], s[4:5], v[16:17]
	v_add_f64 v[16:17], v[2:3], v[166:167]
	v_add_f64 v[4:5], v[59:60], v[4:5]
	v_fma_f64 v[8:9], v[61:62], s[4:5], v[23:24]
	v_add_f64 v[29:30], v[0:1], -v[43:44]
	v_fma_f64 v[12:13], v[61:62], s[6:7], v[23:24]
	v_fma_f64 v[21:22], v[25:26], -0.5, v[83:84]
	v_add_f64 v[23:24], v[85:86], v[2:3]
	v_add_f64 v[25:26], v[83:84], v[0:1]
	v_fma_f64 v[16:17], v[16:17], -0.5, v[85:86]
	v_add_f64 v[27:28], v[2:3], -v[166:167]
	ds_write_b128 v39, v[4:7]
	ds_write_b128 v39, v[8:11] offset:160
	ds_write_b128 v39, v[12:15] offset:320
	v_add_f64 v[12:13], v[124:125], v[168:169]
	v_add_f64 v[14:15], v[126:127], v[170:171]
	;; [unrolled: 1-line block ×4, first 2 shown]
	v_fma_f64 v[6:7], v[29:30], s[6:7], v[16:17]
	v_fma_f64 v[10:11], v[29:30], s[4:5], v[16:17]
	v_mul_u32_u24_e32 v16, 0x1e0, v20
	v_lshlrev_b32_e32 v17, 4, v19
	v_add3_u32 v25, 0, v16, v17
	v_add_f64 v[16:17], v[106:107], v[126:127]
	v_fma_f64 v[4:5], v[27:28], s[4:5], v[21:22]
	v_fma_f64 v[8:9], v[27:28], s[6:7], v[21:22]
	v_fma_f64 v[12:13], v[12:13], -0.5, v[104:105]
	v_add_f64 v[21:22], v[126:127], -v[170:171]
	v_fma_f64 v[14:15], v[14:15], -0.5, v[106:107]
	v_add_f64 v[23:24], v[124:125], -v[168:169]
	v_add_f64 v[19:20], v[104:105], v[124:125]
	ds_write_b128 v25, v[0:3]
	v_add_f64 v[2:3], v[16:17], v[170:171]
	v_add_f64 v[16:17], v[172:173], v[134:135]
	ds_write_b128 v25, v[4:7] offset:160
	ds_write_b128 v25, v[8:11] offset:320
	v_fma_f64 v[4:5], v[21:22], s[4:5], v[12:13]
	v_fma_f64 v[8:9], v[21:22], s[6:7], v[12:13]
	;; [unrolled: 1-line block ×4, first 2 shown]
	v_add_f64 v[12:13], v[130:131], v[128:129]
	v_mul_u32_u24_e32 v14, 0x1e0, v37
	v_lshlrev_b32_e32 v15, 4, v38
	v_add_f64 v[0:1], v[19:20], v[168:169]
	v_add3_u32 v25, 0, v14, v15
	v_fma_f64 v[14:15], v[16:17], -0.5, v[108:109]
	v_add_f64 v[21:22], v[130:131], -v[128:129]
	v_add_f64 v[16:17], v[110:111], v[130:131]
	v_add_f64 v[19:20], v[108:109], v[172:173]
	v_fma_f64 v[12:13], v[12:13], -0.5, v[110:111]
	v_add_f64 v[23:24], v[172:173], -v[134:135]
	ds_write_b128 v25, v[0:3]
	ds_write_b128 v25, v[4:7] offset:160
	ds_write_b128 v25, v[8:11] offset:320
	v_add_f64 v[25:26], v[120:121], -v[136:137]
	v_mul_u32_u24_e32 v27, 0x1e0, v34
	v_fma_f64 v[4:5], v[21:22], s[4:5], v[14:15]
	v_fma_f64 v[8:9], v[21:22], s[6:7], v[14:15]
	v_add_f64 v[14:15], v[174:175], v[176:177]
	v_add_f64 v[2:3], v[16:17], v[128:129]
	;; [unrolled: 1-line block ×3, first 2 shown]
	v_fma_f64 v[6:7], v[23:24], s[6:7], v[12:13]
	v_fma_f64 v[10:11], v[23:24], s[4:5], v[12:13]
	v_add_f64 v[12:13], v[132:133], v[138:139]
	v_add_f64 v[19:20], v[132:133], -v[138:139]
	v_mul_u32_u24_e32 v16, 0x1e0, v35
	v_fma_f64 v[14:15], v[14:15], -0.5, v[112:113]
	v_lshlrev_b32_e32 v17, 4, v36
	v_add3_u32 v23, 0, v16, v17
	ds_write_b128 v23, v[0:3]
	v_add_f64 v[0:1], v[114:115], v[132:133]
	v_add_f64 v[16:17], v[112:113], v[174:175]
	v_fma_f64 v[12:13], v[12:13], -0.5, v[114:115]
	v_add_f64 v[21:22], v[174:175], -v[176:177]
	ds_write_b128 v23, v[4:7] offset:160
	ds_write_b128 v23, v[8:11] offset:320
	v_add_f64 v[23:24], v[120:121], v[136:137]
	v_fma_f64 v[4:5], v[19:20], s[4:5], v[14:15]
	v_fma_f64 v[8:9], v[19:20], s[6:7], v[14:15]
	v_add_f64 v[14:15], v[122:123], v[178:179]
	v_add_f64 v[2:3], v[0:1], v[138:139]
	;; [unrolled: 1-line block ×3, first 2 shown]
	v_fma_f64 v[6:7], v[21:22], s[6:7], v[12:13]
	v_fma_f64 v[10:11], v[21:22], s[4:5], v[12:13]
	v_add_f64 v[12:13], v[118:119], v[122:123]
	v_add_f64 v[19:20], v[116:117], v[120:121]
	v_fma_f64 v[16:17], v[23:24], -0.5, v[116:117]
	v_add_f64 v[21:22], v[122:123], -v[178:179]
	v_fma_f64 v[23:24], v[14:15], -0.5, v[118:119]
	v_lshlrev_b32_e32 v14, 4, v33
	v_add3_u32 v27, 0, v27, v14
	ds_write_b128 v27, v[0:3]
	v_add_f64 v[2:3], v[12:13], v[178:179]
	v_add_f64 v[0:1], v[19:20], v[136:137]
	ds_write_b128 v27, v[4:7] offset:160
	ds_write_b128 v27, v[8:11] offset:320
	v_fma_f64 v[12:13], v[21:22], s[4:5], v[16:17]
	v_fma_f64 v[14:15], v[25:26], s[6:7], v[23:24]
	;; [unrolled: 1-line block ×4, first 2 shown]
	v_mul_u32_u24_e32 v4, 0x1e0, v31
	v_lshlrev_b32_e32 v5, 4, v32
	v_add3_u32 v4, 0, v4, v5
	s_movk_i32 s10, 0x89
	ds_write_b128 v4, v[0:3]
	ds_write_b128 v4, v[12:15] offset:160
	ds_write_b128 v4, v[19:22] offset:320
	v_mul_lo_u16_sdwa v0, v88, s10 dst_sel:DWORD dst_unused:UNUSED_PAD src0_sel:BYTE_0 src1_sel:DWORD
	v_lshrrev_b16_e32 v16, 12, v0
	v_mul_lo_u16_e32 v0, 30, v16
	v_sub_u16_e32 v17, v88, v0
	v_lshlrev_b32_sdwa v4, v18, v17 dst_sel:DWORD dst_unused:UNUSED_PAD src0_sel:DWORD src1_sel:BYTE_0
	s_waitcnt lgkmcnt(0)
	s_barrier
	global_load_dwordx4 v[0:3], v4, s[8:9] offset:320
	s_nop 0
	global_load_dwordx4 v[4:7], v4, s[8:9] offset:336
	v_mul_lo_u16_sdwa v8, v92, s10 dst_sel:DWORD dst_unused:UNUSED_PAD src0_sel:BYTE_0 src1_sel:DWORD
	v_lshrrev_b16_e32 v15, 12, v8
	v_mul_lo_u16_e32 v8, 30, v15
	v_sub_u16_e32 v14, v92, v8
	v_lshlrev_b32_sdwa v8, v18, v14 dst_sel:DWORD dst_unused:UNUSED_PAD src0_sel:DWORD src1_sel:BYTE_0
	global_load_dwordx4 v[31:34], v8, s[8:9] offset:320
	global_load_dwordx4 v[35:38], v8, s[8:9] offset:336
	v_mul_lo_u16_sdwa v8, v101, s10 dst_sel:DWORD dst_unused:UNUSED_PAD src0_sel:BYTE_0 src1_sel:DWORD
	v_lshrrev_b16_e32 v13, 12, v8
	v_mul_lo_u16_e32 v8, 30, v13
	v_sub_u16_e32 v12, v101, v8
	v_lshlrev_b32_sdwa v8, v18, v12 dst_sel:DWORD dst_unused:UNUSED_PAD src0_sel:DWORD src1_sel:BYTE_0
	s_mov_b32 s10, 0x8889
	global_load_dwordx4 v[39:42], v8, s[8:9] offset:320
	global_load_dwordx4 v[59:62], v8, s[8:9] offset:336
	v_mul_u32_u24_sdwa v8, v100, s10 dst_sel:DWORD dst_unused:UNUSED_PAD src0_sel:WORD_0 src1_sel:DWORD
	v_lshrrev_b32_e32 v10, 20, v8
	v_mul_lo_u16_e32 v8, 30, v10
	v_sub_u16_e32 v11, v100, v8
	v_lshlrev_b32_e32 v8, 5, v11
	ds_read_b128 v[63:66], v103 offset:12960
	global_load_dwordx4 v[67:70], v8, s[8:9] offset:320
	global_load_dwordx4 v[71:74], v8, s[8:9] offset:336
	v_mul_u32_u24_sdwa v19, v99, s10 dst_sel:DWORD dst_unused:UNUSED_PAD src0_sel:WORD_0 src1_sel:DWORD
	v_lshrrev_b32_e32 v30, 20, v19
	v_mul_lo_u16_e32 v19, 30, v30
	v_sub_u16_e32 v29, v99, v19
	v_lshlrev_b32_e32 v19, 5, v29
	ds_read_b128 v[75:78], v103
	global_load_dwordx4 v[79:82], v19, s[8:9] offset:320
	global_load_dwordx4 v[83:86], v19, s[8:9] offset:336
	v_mul_u32_u24_sdwa v19, v98, s10 dst_sel:DWORD dst_unused:UNUSED_PAD src0_sel:WORD_0 src1_sel:DWORD
	v_lshrrev_b32_e32 v28, 20, v19
	v_mul_lo_u16_e32 v19, 30, v28
	v_sub_u16_e32 v27, v98, v19
	v_lshlrev_b32_e32 v19, 5, v27
	global_load_dwordx4 v[104:107], v19, s[8:9] offset:320
	global_load_dwordx4 v[108:111], v19, s[8:9] offset:336
	v_mul_u32_u24_e32 v16, 0x5a0, v16
	v_lshlrev_b32_sdwa v17, v58, v17 dst_sel:DWORD dst_unused:UNUSED_PAD src0_sel:DWORD src1_sel:BYTE_0
	v_lshlrev_b32_sdwa v14, v58, v14 dst_sel:DWORD dst_unused:UNUSED_PAD src0_sel:DWORD src1_sel:BYTE_0
	v_mul_u32_u24_e32 v13, 0x5a0, v13
	v_lshlrev_b32_sdwa v12, v58, v12 dst_sel:DWORD dst_unused:UNUSED_PAD src0_sel:DWORD src1_sel:BYTE_0
	v_mul_u32_u24_e32 v10, 0x5a0, v10
	v_lshlrev_b32_e32 v11, 4, v11
	v_mul_u32_u24_e32 v30, 0x5a0, v30
	v_lshlrev_b32_e32 v29, 4, v29
	v_mov_b32_e32 v57, s9
	s_waitcnt vmcnt(11) lgkmcnt(1)
	v_mul_f64 v[8:9], v[65:66], v[2:3]
	v_mul_f64 v[2:3], v[63:64], v[2:3]
	v_fma_f64 v[43:44], v[63:64], v[0:1], v[8:9]
	v_mul_u32_u24_sdwa v8, v97, s10 dst_sel:DWORD dst_unused:UNUSED_PAD src0_sel:WORD_0 src1_sel:DWORD
	v_lshrrev_b32_e32 v25, 20, v8
	v_mul_lo_u16_e32 v8, 30, v25
	v_sub_u16_e32 v26, v97, v8
	v_lshlrev_b32_e32 v8, 5, v26
	global_load_dwordx4 v[112:115], v8, s[8:9] offset:320
	global_load_dwordx4 v[116:119], v8, s[8:9] offset:336
	v_mul_u32_u24_sdwa v8, v96, s10 dst_sel:DWORD dst_unused:UNUSED_PAD src0_sel:WORD_0 src1_sel:DWORD
	v_lshrrev_b32_e32 v23, 20, v8
	v_mul_lo_u16_e32 v8, 30, v23
	ds_read_b128 v[120:123], v103 offset:25920
	ds_read_b128 v[128:131], v103 offset:24624
	v_sub_u16_e32 v24, v96, v8
	v_lshlrev_b32_e32 v8, 5, v24
	global_load_dwordx4 v[124:127], v8, s[8:9] offset:320
	global_load_dwordx4 v[132:135], v8, s[8:9] offset:336
	s_waitcnt vmcnt(14) lgkmcnt(1)
	v_mul_f64 v[63:64], v[122:123], v[6:7]
	v_mul_f64 v[160:161], v[120:121], v[6:7]
	v_mul_u32_u24_sdwa v6, v95, s10 dst_sel:DWORD dst_unused:UNUSED_PAD src0_sel:WORD_0 src1_sel:DWORD
	v_lshrrev_b32_e32 v22, 20, v6
	v_mul_lo_u16_e32 v6, 30, v22
	v_sub_u16_e32 v21, v95, v6
	v_lshlrev_b32_e32 v6, 5, v21
	global_load_dwordx4 v[136:139], v6, s[8:9] offset:320
	global_load_dwordx4 v[140:143], v6, s[8:9] offset:336
	v_mul_u32_u24_sdwa v6, v94, s10 dst_sel:DWORD dst_unused:UNUSED_PAD src0_sel:WORD_0 src1_sel:DWORD
	v_lshrrev_b32_e32 v19, 20, v6
	v_mul_lo_u16_e32 v6, 30, v19
	v_sub_u16_e32 v20, v94, v6
	v_lshlrev_b32_e32 v45, 5, v20
	ds_read_b128 v[6:9], v103 offset:14256
	global_load_dwordx4 v[144:147], v45, s[8:9] offset:320
	ds_read_b128 v[148:151], v103 offset:27216
	ds_read_b128 v[152:155], v103 offset:15552
	v_fma_f64 v[166:167], v[65:66], v[0:1], -v[2:3]
	v_fma_f64 v[120:121], v[120:121], v[4:5], v[63:64]
	global_load_dwordx4 v[63:66], v45, s[8:9] offset:336
	s_waitcnt vmcnt(17) lgkmcnt(2)
	v_mul_f64 v[162:163], v[8:9], v[33:34]
	v_mul_f64 v[33:34], v[6:7], v[33:34]
	s_waitcnt vmcnt(16) lgkmcnt(1)
	v_mul_f64 v[164:165], v[150:151], v[37:38]
	ds_read_b128 v[156:159], v103 offset:28512
	ds_read_b128 v[0:3], v103 offset:16848
	v_fma_f64 v[122:123], v[122:123], v[4:5], -v[160:161]
	v_mul_f64 v[37:38], v[148:149], v[37:38]
	v_add3_u32 v45, 0, v16, v17
	v_fma_f64 v[160:161], v[6:7], v[31:32], v[162:163]
	v_fma_f64 v[162:163], v[8:9], v[31:32], -v[33:34]
	ds_read_b128 v[4:7], v103 offset:29808
	ds_read_b128 v[31:34], v103 offset:18144
	v_fma_f64 v[148:149], v[148:149], v[35:36], v[164:165]
	s_waitcnt vmcnt(15) lgkmcnt(4)
	v_mul_f64 v[8:9], v[154:155], v[41:42]
	s_waitcnt vmcnt(14) lgkmcnt(3)
	v_mul_f64 v[164:165], v[158:159], v[61:62]
	v_mul_f64 v[61:62], v[156:157], v[61:62]
	s_waitcnt vmcnt(12) lgkmcnt(1)
	v_mul_f64 v[170:171], v[6:7], v[73:74]
	v_mul_f64 v[168:169], v[2:3], v[69:70]
	;; [unrolled: 1-line block ×4, first 2 shown]
	v_fma_f64 v[150:151], v[150:151], v[35:36], -v[37:38]
	v_fma_f64 v[152:153], v[152:153], v[39:40], v[8:9]
	v_fma_f64 v[156:157], v[156:157], v[59:60], v[164:165]
	v_fma_f64 v[158:159], v[158:159], v[59:60], -v[61:62]
	v_mul_f64 v[8:9], v[4:5], v[73:74]
	v_fma_f64 v[170:171], v[4:5], v[71:72], v[170:171]
	s_waitcnt vmcnt(11) lgkmcnt(0)
	v_mul_f64 v[4:5], v[33:34], v[81:82]
	v_mul_f64 v[59:60], v[31:32], v[81:82]
	ds_read_b128 v[35:38], v103 offset:31104
	v_fma_f64 v[164:165], v[0:1], v[67:68], v[168:169]
	v_fma_f64 v[168:169], v[2:3], v[67:68], -v[69:70]
	ds_read_b128 v[0:3], v103 offset:19440
	v_fma_f64 v[172:173], v[6:7], v[71:72], -v[8:9]
	v_fma_f64 v[154:155], v[154:155], v[39:40], -v[41:42]
	ds_read_b128 v[39:42], v103 offset:20736
	v_fma_f64 v[6:7], v[31:32], v[79:80], v[4:5]
	v_fma_f64 v[174:175], v[33:34], v[79:80], -v[59:60]
	ds_read_b128 v[31:34], v103 offset:32400
	s_waitcnt vmcnt(10) lgkmcnt(3)
	v_mul_f64 v[61:62], v[37:38], v[85:86]
	v_mul_f64 v[67:68], v[35:36], v[85:86]
	s_waitcnt vmcnt(9) lgkmcnt(2)
	v_mul_f64 v[69:70], v[2:3], v[106:107]
	v_mul_f64 v[73:74], v[0:1], v[106:107]
	s_waitcnt vmcnt(8) lgkmcnt(0)
	v_mul_f64 v[85:86], v[31:32], v[110:111]
	v_add_f64 v[16:17], v[160:161], v[148:149]
	s_movk_i32 s10, 0xb7
	v_fma_f64 v[4:5], v[35:36], v[83:84], v[61:62]
	v_fma_f64 v[8:9], v[37:38], v[83:84], -v[67:68]
	ds_read_b128 v[35:38], v54
	ds_read_b128 v[59:62], v103 offset:33696
	v_mul_f64 v[83:84], v[33:34], v[110:111]
	v_fma_f64 v[0:1], v[0:1], v[104:105], v[69:70]
	v_fma_f64 v[2:3], v[2:3], v[104:105], -v[73:74]
	ds_read_b128 v[67:70], v103 offset:22032
	ds_read_b128 v[71:74], v103 offset:34992
	s_waitcnt vmcnt(7)
	v_mul_f64 v[104:105], v[41:42], v[114:115]
	v_mul_f64 v[106:107], v[39:40], v[114:115]
	s_waitcnt vmcnt(6) lgkmcnt(2)
	v_mul_f64 v[110:111], v[61:62], v[118:119]
	v_mul_f64 v[114:115], v[59:60], v[118:119]
	ds_read_b128 v[79:82], v103 offset:23328
	v_fma_f64 v[176:177], v[31:32], v[108:109], v[83:84]
	s_waitcnt vmcnt(5) lgkmcnt(2)
	v_mul_f64 v[118:119], v[69:70], v[126:127]
	v_mul_f64 v[126:127], v[67:68], v[126:127]
	v_fma_f64 v[178:179], v[33:34], v[108:109], -v[85:86]
	ds_read_b128 v[31:34], v103 offset:36288
	v_fma_f64 v[180:181], v[39:40], v[112:113], v[104:105]
	v_fma_f64 v[112:113], v[41:42], v[112:113], -v[106:107]
	ds_read_b128 v[39:42], v103 offset:37584
	v_fma_f64 v[182:183], v[59:60], v[116:117], v[110:111]
	v_fma_f64 v[114:115], v[61:62], v[116:117], -v[114:115]
	v_fma_f64 v[116:117], v[67:68], v[124:125], v[118:119]
	v_fma_f64 v[118:119], v[69:70], v[124:125], -v[126:127]
	s_waitcnt vmcnt(4) lgkmcnt(3)
	v_mul_f64 v[59:60], v[73:74], v[134:135]
	v_mul_f64 v[61:62], v[71:72], v[134:135]
	s_waitcnt vmcnt(3) lgkmcnt(2)
	v_mul_f64 v[67:68], v[81:82], v[138:139]
	v_mul_f64 v[69:70], v[79:80], v[138:139]
	;; [unrolled: 3-line block ×3, first 2 shown]
	s_waitcnt vmcnt(1)
	v_mul_f64 v[104:105], v[130:131], v[146:147]
	v_fma_f64 v[124:125], v[71:72], v[132:133], v[59:60]
	v_fma_f64 v[126:127], v[73:74], v[132:133], -v[61:62]
	v_fma_f64 v[132:133], v[79:80], v[136:137], v[67:68]
	v_fma_f64 v[134:135], v[81:82], v[136:137], -v[69:70]
	v_add_f64 v[59:60], v[43:44], v[120:121]
	v_fma_f64 v[136:137], v[31:32], v[140:141], v[83:84]
	v_add_f64 v[31:32], v[166:167], v[122:123]
	v_fma_f64 v[138:139], v[33:34], v[140:141], -v[85:86]
	v_mul_f64 v[33:34], v[128:129], v[146:147]
	s_waitcnt vmcnt(0) lgkmcnt(0)
	v_mul_f64 v[61:62], v[41:42], v[65:66]
	v_mul_f64 v[65:66], v[39:40], v[65:66]
	v_add_f64 v[67:68], v[77:78], v[166:167]
	v_fma_f64 v[59:60], v[59:60], -0.5, v[75:76]
	v_add_f64 v[69:70], v[75:76], v[43:44]
	v_add_f64 v[71:72], v[166:167], -v[122:123]
	v_fma_f64 v[73:74], v[31:32], -0.5, v[77:78]
	v_add_f64 v[43:44], v[43:44], -v[120:121]
	v_fma_f64 v[140:141], v[128:129], v[144:145], v[104:105]
	v_fma_f64 v[128:129], v[130:131], v[144:145], -v[33:34]
	v_fma_f64 v[130:131], v[39:40], v[63:64], v[61:62]
	v_fma_f64 v[142:143], v[41:42], v[63:64], -v[65:66]
	v_add_f64 v[33:34], v[67:68], v[122:123]
	v_add_f64 v[31:32], v[69:70], v[120:121]
	v_fma_f64 v[39:40], v[71:72], s[4:5], v[59:60]
	v_fma_f64 v[59:60], v[71:72], s[6:7], v[59:60]
	;; [unrolled: 1-line block ×4, first 2 shown]
	ds_read_b128 v[63:66], v56
	ds_read_b128 v[67:70], v55
	;; [unrolled: 1-line block ×4, first 2 shown]
	v_add_f64 v[43:44], v[162:163], v[150:151]
	s_waitcnt lgkmcnt(3)
	v_fma_f64 v[16:17], v[16:17], -0.5, v[63:64]
	v_add_f64 v[63:64], v[63:64], v[160:161]
	ds_read_b128 v[79:82], v51
	ds_read_b128 v[83:86], v50
	;; [unrolled: 1-line block ×4, first 2 shown]
	s_waitcnt lgkmcnt(0)
	s_barrier
	v_add_f64 v[120:121], v[65:66], v[162:163]
	v_add_f64 v[122:123], v[162:163], -v[150:151]
	ds_write_b128 v45, v[31:34]
	v_fma_f64 v[43:44], v[43:44], -0.5, v[65:66]
	v_add_f64 v[65:66], v[160:161], -v[148:149]
	v_add_f64 v[31:32], v[63:64], v[148:149]
	v_add_f64 v[63:64], v[152:153], v[156:157]
	ds_write_b128 v45, v[39:42] offset:480
	ds_write_b128 v45, v[59:62] offset:960
	v_add_f64 v[33:34], v[120:121], v[150:151]
	v_fma_f64 v[39:40], v[122:123], s[4:5], v[16:17]
	v_fma_f64 v[59:60], v[122:123], s[6:7], v[16:17]
	v_mul_u32_u24_e32 v17, 0x5a0, v15
	v_fma_f64 v[41:42], v[65:66], s[6:7], v[43:44]
	v_fma_f64 v[61:62], v[65:66], s[4:5], v[43:44]
	v_add_f64 v[15:16], v[154:155], v[158:159]
	v_fma_f64 v[43:44], v[63:64], -0.5, v[67:68]
	v_add_f64 v[63:64], v[69:70], v[154:155]
	v_add_f64 v[65:66], v[67:68], v[152:153]
	v_add_f64 v[67:68], v[154:155], -v[158:159]
	v_add3_u32 v14, 0, v17, v14
	ds_write_b128 v14, v[31:34]
	v_add_f64 v[120:121], v[152:153], -v[156:157]
	v_fma_f64 v[69:70], v[15:16], -0.5, v[69:70]
	ds_write_b128 v14, v[39:42] offset:480
	ds_write_b128 v14, v[59:62] offset:960
	v_add_f64 v[16:17], v[63:64], v[158:159]
	v_add_f64 v[14:15], v[65:66], v[156:157]
	v_fma_f64 v[31:32], v[67:68], s[4:5], v[43:44]
	v_fma_f64 v[39:40], v[67:68], s[6:7], v[43:44]
	v_add_f64 v[43:44], v[168:169], v[172:173]
	v_add3_u32 v45, 0, v13, v12
	v_add_f64 v[59:60], v[164:165], v[170:171]
	v_fma_f64 v[33:34], v[120:121], s[6:7], v[69:70]
	v_add_f64 v[12:13], v[37:38], v[168:169]
	ds_write_b128 v45, v[14:17]
	v_fma_f64 v[41:42], v[120:121], s[4:5], v[69:70]
	v_add_f64 v[61:62], v[168:169], -v[172:173]
	v_fma_f64 v[16:17], v[43:44], -0.5, v[37:38]
	v_add_f64 v[37:38], v[164:165], -v[170:171]
	v_fma_f64 v[59:60], v[59:60], -0.5, v[35:36]
	v_add_f64 v[35:36], v[35:36], v[164:165]
	ds_write_b128 v45, v[31:34] offset:480
	ds_write_b128 v45, v[39:42] offset:960
	v_add_f64 v[14:15], v[12:13], v[172:173]
	v_add_f64 v[39:40], v[6:7], v[4:5]
	v_add3_u32 v45, 0, v10, v11
	v_fma_f64 v[33:34], v[37:38], s[6:7], v[16:17]
	v_fma_f64 v[37:38], v[37:38], s[4:5], v[16:17]
	v_add_f64 v[16:17], v[174:175], v[8:9]
	v_add_f64 v[12:13], v[35:36], v[170:171]
	v_fma_f64 v[31:32], v[61:62], s[4:5], v[59:60]
	v_fma_f64 v[35:36], v[61:62], s[6:7], v[59:60]
	v_add_f64 v[10:11], v[73:74], v[174:175]
	v_add_f64 v[59:60], v[6:7], -v[4:5]
	v_fma_f64 v[39:40], v[39:40], -0.5, v[71:72]
	v_add_f64 v[41:42], v[71:72], v[6:7]
	v_fma_f64 v[16:17], v[16:17], -0.5, v[73:74]
	v_add_f64 v[43:44], v[174:175], -v[8:9]
	ds_write_b128 v45, v[12:15]
	ds_write_b128 v45, v[31:34] offset:480
	ds_write_b128 v45, v[35:38] offset:960
	v_add_f64 v[31:32], v[0:1], v[176:177]
	v_add_f64 v[6:7], v[10:11], v[8:9]
	v_add_f64 v[37:38], v[0:1], -v[176:177]
	v_add_f64 v[33:34], v[75:76], v[0:1]
	v_add_f64 v[4:5], v[41:42], v[4:5]
	v_fma_f64 v[10:11], v[59:60], s[6:7], v[16:17]
	v_fma_f64 v[14:15], v[59:60], s[4:5], v[16:17]
	v_add_f64 v[16:17], v[2:3], v[178:179]
	v_fma_f64 v[8:9], v[43:44], s[4:5], v[39:40]
	v_fma_f64 v[12:13], v[43:44], s[6:7], v[39:40]
	v_add3_u32 v39, 0, v30, v29
	v_fma_f64 v[29:30], v[31:32], -0.5, v[75:76]
	v_add_f64 v[31:32], v[77:78], v[2:3]
	v_add_f64 v[35:36], v[2:3], -v[178:179]
	ds_write_b128 v39, v[4:7]
	v_fma_f64 v[16:17], v[16:17], -0.5, v[77:78]
	ds_write_b128 v39, v[8:11] offset:480
	ds_write_b128 v39, v[12:15] offset:960
	v_add_f64 v[12:13], v[180:181], v[182:183]
	v_add_f64 v[14:15], v[112:113], v[114:115]
	v_add_f64 v[0:1], v[33:34], v[176:177]
	v_add_f64 v[2:3], v[31:32], v[178:179]
	v_fma_f64 v[4:5], v[35:36], s[4:5], v[29:30]
	v_fma_f64 v[8:9], v[35:36], s[6:7], v[29:30]
	;; [unrolled: 1-line block ×4, first 2 shown]
	v_mul_u32_u24_e32 v16, 0x5a0, v28
	v_lshlrev_b32_e32 v17, 4, v27
	v_add3_u32 v33, 0, v16, v17
	v_add_f64 v[16:17], v[81:82], v[112:113]
	v_fma_f64 v[12:13], v[12:13], -0.5, v[79:80]
	v_add_f64 v[29:30], v[112:113], -v[114:115]
	v_fma_f64 v[14:15], v[14:15], -0.5, v[81:82]
	v_add_f64 v[31:32], v[180:181], -v[182:183]
	v_add_f64 v[27:28], v[79:80], v[180:181]
	ds_write_b128 v33, v[0:3]
	ds_write_b128 v33, v[4:7] offset:480
	ds_write_b128 v33, v[8:11] offset:960
	v_add_f64 v[2:3], v[16:17], v[114:115]
	v_add_f64 v[16:17], v[116:117], v[124:125]
	v_fma_f64 v[4:5], v[29:30], s[4:5], v[12:13]
	v_fma_f64 v[8:9], v[29:30], s[6:7], v[12:13]
	;; [unrolled: 1-line block ×4, first 2 shown]
	v_add_f64 v[12:13], v[118:119], v[126:127]
	v_mul_u32_u24_e32 v14, 0x5a0, v25
	v_lshlrev_b32_e32 v15, 4, v26
	v_add_f64 v[0:1], v[27:28], v[182:183]
	v_add3_u32 v31, 0, v14, v15
	v_fma_f64 v[14:15], v[16:17], -0.5, v[83:84]
	v_add_f64 v[27:28], v[118:119], -v[126:127]
	v_add_f64 v[16:17], v[85:86], v[118:119]
	v_add_f64 v[25:26], v[83:84], v[116:117]
	v_fma_f64 v[12:13], v[12:13], -0.5, v[85:86]
	v_add_f64 v[29:30], v[116:117], -v[124:125]
	ds_write_b128 v31, v[0:3]
	ds_write_b128 v31, v[4:7] offset:480
	ds_write_b128 v31, v[8:11] offset:960
	v_fma_f64 v[4:5], v[27:28], s[4:5], v[14:15]
	v_fma_f64 v[8:9], v[27:28], s[6:7], v[14:15]
	v_add_f64 v[14:15], v[132:133], v[136:137]
	v_add_f64 v[2:3], v[16:17], v[126:127]
	;; [unrolled: 1-line block ×3, first 2 shown]
	v_fma_f64 v[6:7], v[29:30], s[6:7], v[12:13]
	v_fma_f64 v[10:11], v[29:30], s[4:5], v[12:13]
	v_add_f64 v[12:13], v[134:135], v[138:139]
	v_mul_u32_u24_e32 v16, 0x5a0, v23
	v_lshlrev_b32_e32 v17, 4, v24
	v_fma_f64 v[14:15], v[14:15], -0.5, v[104:105]
	v_add_f64 v[23:24], v[134:135], -v[138:139]
	v_add3_u32 v27, 0, v16, v17
	ds_write_b128 v27, v[0:3]
	v_add_f64 v[0:1], v[106:107], v[134:135]
	v_add_f64 v[16:17], v[104:105], v[132:133]
	v_fma_f64 v[12:13], v[12:13], -0.5, v[106:107]
	v_add_f64 v[25:26], v[132:133], -v[136:137]
	ds_write_b128 v27, v[4:7] offset:480
	ds_write_b128 v27, v[8:11] offset:960
	v_add_f64 v[27:28], v[140:141], v[130:131]
	v_fma_f64 v[4:5], v[23:24], s[4:5], v[14:15]
	v_fma_f64 v[8:9], v[23:24], s[6:7], v[14:15]
	v_add_f64 v[14:15], v[128:129], v[142:143]
	v_add_f64 v[2:3], v[0:1], v[138:139]
	;; [unrolled: 1-line block ×3, first 2 shown]
	v_fma_f64 v[6:7], v[25:26], s[6:7], v[12:13]
	v_fma_f64 v[10:11], v[25:26], s[4:5], v[12:13]
	v_mul_u32_u24_e32 v30, 0x5a0, v22
	v_add_f64 v[12:13], v[110:111], v[128:129]
	v_add_f64 v[22:23], v[108:109], v[140:141]
	v_fma_f64 v[16:17], v[27:28], -0.5, v[108:109]
	v_add_f64 v[24:25], v[128:129], -v[142:143]
	v_fma_f64 v[26:27], v[14:15], -0.5, v[110:111]
	v_add_f64 v[28:29], v[140:141], -v[130:131]
	v_lshlrev_b32_e32 v14, 4, v21
	v_add3_u32 v30, 0, v30, v14
	ds_write_b128 v30, v[0:3]
	v_add_f64 v[2:3], v[12:13], v[142:143]
	v_add_f64 v[0:1], v[22:23], v[130:131]
	v_fma_f64 v[12:13], v[24:25], s[4:5], v[16:17]
	v_fma_f64 v[21:22], v[24:25], s[6:7], v[16:17]
	;; [unrolled: 1-line block ×4, first 2 shown]
	ds_write_b128 v30, v[4:7] offset:480
	ds_write_b128 v30, v[8:11] offset:960
	v_mul_u32_u24_e32 v4, 0x5a0, v19
	v_lshlrev_b32_e32 v5, 4, v20
	v_add3_u32 v4, 0, v4, v5
	ds_write_b128 v4, v[0:3]
	ds_write_b128 v4, v[12:15] offset:480
	ds_write_b128 v4, v[21:24] offset:960
	v_lshlrev_b32_e32 v24, 1, v88
	v_mov_b32_e32 v25, 0
	v_lshlrev_b64 v[0:1], 4, v[24:25]
	s_waitcnt lgkmcnt(0)
	v_add_co_u32_e32 v26, vcc, s8, v0
	v_addc_co_u32_e32 v27, vcc, v57, v1, vcc
	s_barrier
	global_load_dwordx4 v[0:3], v[26:27], off offset:1280
	global_load_dwordx4 v[4:7], v[26:27], off offset:1296
	v_add_u32_e32 v8, -9, v88
	v_cmp_gt_u32_e32 vcc, 9, v88
	v_cndmask_b32_e32 v64, v8, v92, vcc
	v_lshlrev_b32_e32 v8, 1, v64
	v_mov_b32_e32 v9, v25
	v_lshlrev_b64 v[8:9], 4, v[8:9]
	v_lshlrev_b32_e32 v64, 4, v64
	v_add_co_u32_e32 v16, vcc, s8, v8
	v_addc_co_u32_e32 v17, vcc, v57, v9, vcc
	global_load_dwordx4 v[8:11], v[16:17], off offset:1280
	global_load_dwordx4 v[12:15], v[16:17], off offset:1296
	v_mul_lo_u16_sdwa v16, v101, s10 dst_sel:DWORD dst_unused:UNUSED_PAD src0_sel:BYTE_0 src1_sel:DWORD
	v_lshrrev_b16_e32 v63, 14, v16
	v_mul_lo_u16_e32 v16, 0x5a, v63
	v_sub_u16_e32 v65, v101, v16
	v_lshlrev_b32_sdwa v28, v18, v65 dst_sel:DWORD dst_unused:UNUSED_PAD src0_sel:DWORD src1_sel:BYTE_0
	s_movk_i32 s10, 0x2d83
	global_load_dwordx4 v[16:19], v28, s[8:9] offset:1280
	global_load_dwordx4 v[20:23], v28, s[8:9] offset:1296
	v_mul_u32_u24_sdwa v28, v100, s10 dst_sel:DWORD dst_unused:UNUSED_PAD src0_sel:WORD_0 src1_sel:DWORD
	v_lshrrev_b32_e32 v60, 20, v28
	v_mul_lo_u16_e32 v28, 0x5a, v60
	v_sub_u16_e32 v61, v100, v28
	v_lshlrev_b32_e32 v36, 5, v61
	global_load_dwordx4 v[28:31], v36, s[8:9] offset:1280
	global_load_dwordx4 v[32:35], v36, s[8:9] offset:1296
	v_mul_u32_u24_sdwa v36, v99, s10 dst_sel:DWORD dst_unused:UNUSED_PAD src0_sel:WORD_0 src1_sel:DWORD
	v_lshrrev_b32_e32 v59, 20, v36
	v_mul_lo_u16_e32 v40, 0x5a, v59
	v_sub_u16_e32 v62, v99, v40
	v_lshlrev_b32_e32 v66, 5, v62
	ds_read_b128 v[36:39], v103 offset:12960
	ds_read_b128 v[75:78], v103
	global_load_dwordx4 v[40:43], v66, s[8:9] offset:1280
	global_load_dwordx4 v[79:82], v66, s[8:9] offset:1296
	v_mul_u32_u24_sdwa v66, v98, s10 dst_sel:DWORD dst_unused:UNUSED_PAD src0_sel:WORD_0 src1_sel:DWORD
	v_lshrrev_b32_e32 v74, 20, v66
	v_mul_lo_u16_e32 v66, 0x5a, v74
	v_sub_u16_e32 v73, v98, v66
	v_lshlrev_b32_e32 v66, 5, v73
	global_load_dwordx4 v[83:86], v66, s[8:9] offset:1280
	global_load_dwordx4 v[104:107], v66, s[8:9] offset:1296
	v_cmp_lt_u32_e32 vcc, 8, v88
	v_lshlrev_b32_sdwa v58, v58, v65 dst_sel:DWORD dst_unused:UNUSED_PAD src0_sel:DWORD src1_sel:BYTE_0
	v_mul_u32_u24_e32 v63, 0x10e0, v63
	v_add3_u32 v58, 0, v63, v58
	s_waitcnt vmcnt(11) lgkmcnt(1)
	v_mul_f64 v[44:45], v[38:39], v[2:3]
	v_mul_f64 v[2:3], v[36:37], v[2:3]
	v_fma_f64 v[160:161], v[36:37], v[0:1], v[44:45]
	v_mul_u32_u24_sdwa v36, v97, s10 dst_sel:DWORD dst_unused:UNUSED_PAD src0_sel:WORD_0 src1_sel:DWORD
	v_lshrrev_b32_e32 v71, 20, v36
	v_mul_lo_u16_e32 v36, 0x5a, v71
	v_sub_u16_e32 v72, v97, v36
	v_lshlrev_b32_e32 v36, 5, v72
	global_load_dwordx4 v[108:111], v36, s[8:9] offset:1280
	global_load_dwordx4 v[112:115], v36, s[8:9] offset:1296
	v_mul_u32_u24_sdwa v36, v96, s10 dst_sel:DWORD dst_unused:UNUSED_PAD src0_sel:WORD_0 src1_sel:DWORD
	v_lshrrev_b32_e32 v70, 20, v36
	v_mul_lo_u16_e32 v36, 0x5a, v70
	v_sub_u16_e32 v69, v96, v36
	v_lshlrev_b32_e32 v44, 5, v69
	global_load_dwordx4 v[120:123], v44, s[8:9] offset:1280
	ds_read_b128 v[116:119], v103 offset:25920
	ds_read_b128 v[124:127], v103 offset:24624
	;; [unrolled: 1-line block ×4, first 2 shown]
	global_load_dwordx4 v[136:139], v44, s[8:9] offset:1296
	v_mul_u32_u24_sdwa v44, v95, s10 dst_sel:DWORD dst_unused:UNUSED_PAD src0_sel:WORD_0 src1_sel:DWORD
	v_lshrrev_b32_e32 v67, 20, v44
	v_mul_lo_u16_e32 v44, 0x5a, v67
	v_sub_u16_e32 v68, v95, v44
	v_lshlrev_b32_e32 v66, 5, v68
	global_load_dwordx4 v[140:143], v66, s[8:9] offset:1280
	global_load_dwordx4 v[144:147], v66, s[8:9] offset:1296
	v_mul_u32_u24_sdwa v66, v94, s10 dst_sel:DWORD dst_unused:UNUSED_PAD src0_sel:WORD_0 src1_sel:DWORD
	v_lshrrev_b32_e32 v66, 20, v66
	v_mul_lo_u16_e32 v66, 0x5a, v66
	v_sub_u16_e32 v66, v94, v66
	v_lshlrev_b32_e32 v87, 5, v66
	global_load_dwordx4 v[152:155], v87, s[8:9] offset:1280
	v_fma_f64 v[164:165], v[38:39], v[0:1], -v[2:3]
	global_load_dwordx4 v[0:3], v87, s[8:9] offset:1296
	s_waitcnt vmcnt(18) lgkmcnt(3)
	v_mul_f64 v[36:37], v[118:119], v[6:7]
	v_mul_f64 v[6:7], v[116:117], v[6:7]
	ds_read_b128 v[148:151], v103 offset:27216
	s_waitcnt vmcnt(17) lgkmcnt(2)
	v_mul_f64 v[44:45], v[130:131], v[10:11]
	v_mul_f64 v[10:11], v[128:129], v[10:11]
	ds_read_b128 v[156:159], v103 offset:28512
	s_movk_i32 s10, 0x1040
	v_fma_f64 v[116:117], v[116:117], v[4:5], v[36:37]
	v_fma_f64 v[118:119], v[118:119], v[4:5], -v[6:7]
	ds_read_b128 v[4:7], v103 offset:16848
	s_waitcnt vmcnt(16) lgkmcnt(2)
	v_mul_f64 v[162:163], v[150:151], v[14:15]
	v_mul_f64 v[14:15], v[148:149], v[14:15]
	v_fma_f64 v[128:129], v[128:129], v[8:9], v[44:45]
	v_fma_f64 v[130:131], v[130:131], v[8:9], -v[10:11]
	s_waitcnt vmcnt(13) lgkmcnt(0)
	v_mul_f64 v[166:167], v[6:7], v[30:31]
	v_mul_f64 v[30:31], v[4:5], v[30:31]
	;; [unrolled: 1-line block ×4, first 2 shown]
	v_fma_f64 v[148:149], v[148:149], v[12:13], v[162:163]
	v_fma_f64 v[150:151], v[150:151], v[12:13], -v[14:15]
	ds_read_b128 v[8:11], v103 offset:29808
	ds_read_b128 v[12:15], v103 offset:18144
	v_mul_f64 v[162:163], v[158:159], v[22:23]
	v_mul_f64 v[22:23], v[156:157], v[22:23]
	ds_read_b128 v[36:39], v103 offset:31104
	s_waitcnt vmcnt(12) lgkmcnt(2)
	v_mul_f64 v[168:169], v[10:11], v[34:35]
	v_fma_f64 v[170:171], v[132:133], v[16:17], v[44:45]
	v_fma_f64 v[172:173], v[134:135], v[16:17], -v[18:19]
	ds_read_b128 v[16:19], v103 offset:20736
	v_fma_f64 v[156:157], v[156:157], v[20:21], v[162:163]
	v_fma_f64 v[158:159], v[158:159], v[20:21], -v[22:23]
	v_mul_f64 v[20:21], v[8:9], v[34:35]
	v_fma_f64 v[168:169], v[8:9], v[32:33], v[168:169]
	s_waitcnt vmcnt(11) lgkmcnt(2)
	v_mul_f64 v[8:9], v[14:15], v[42:43]
	v_fma_f64 v[162:163], v[4:5], v[28:29], v[166:167]
	v_fma_f64 v[166:167], v[6:7], v[28:29], -v[30:31]
	ds_read_b128 v[4:7], v103 offset:19440
	v_mul_f64 v[22:23], v[12:13], v[42:43]
	v_fma_f64 v[174:175], v[10:11], v[32:33], -v[20:21]
	v_fma_f64 v[176:177], v[12:13], v[40:41], v[8:9]
	ds_read_b128 v[8:11], v103 offset:32400
	s_waitcnt vmcnt(10) lgkmcnt(3)
	v_mul_f64 v[28:29], v[38:39], v[81:82]
	v_mul_f64 v[30:31], v[36:37], v[81:82]
	s_waitcnt vmcnt(9) lgkmcnt(1)
	v_mul_f64 v[34:35], v[6:7], v[85:86]
	v_mul_f64 v[42:43], v[4:5], v[85:86]
	v_fma_f64 v[178:179], v[14:15], v[40:41], -v[22:23]
	v_fma_f64 v[180:181], v[36:37], v[79:80], v[28:29]
	s_waitcnt vmcnt(8) lgkmcnt(0)
	v_mul_f64 v[28:29], v[10:11], v[106:107]
	v_fma_f64 v[182:183], v[38:39], v[79:80], -v[30:31]
	v_fma_f64 v[32:33], v[4:5], v[83:84], v[34:35]
	v_fma_f64 v[38:39], v[6:7], v[83:84], -v[42:43]
	ds_read_b128 v[79:82], v54
	ds_read_b128 v[4:7], v103 offset:33696
	ds_read_b128 v[12:15], v103 offset:22032
	;; [unrolled: 1-line block ×3, first 2 shown]
	v_mul_f64 v[30:31], v[8:9], v[106:107]
	s_waitcnt vmcnt(7)
	v_mul_f64 v[34:35], v[18:19], v[110:111]
	v_mul_f64 v[36:37], v[16:17], v[110:111]
	v_fma_f64 v[184:185], v[8:9], v[104:105], v[28:29]
	s_waitcnt vmcnt(5) lgkmcnt(1)
	v_mul_f64 v[8:9], v[12:13], v[122:123]
	v_mul_f64 v[40:41], v[6:7], v[114:115]
	;; [unrolled: 1-line block ×3, first 2 shown]
	ds_read_b128 v[83:86], v103 offset:23328
	v_mul_f64 v[106:107], v[14:15], v[122:123]
	v_fma_f64 v[186:187], v[10:11], v[104:105], -v[30:31]
	v_fma_f64 v[42:43], v[16:17], v[108:109], v[34:35]
	v_fma_f64 v[188:189], v[18:19], v[108:109], -v[36:37]
	s_waitcnt vmcnt(4) lgkmcnt(1)
	v_mul_f64 v[16:17], v[22:23], v[138:139]
	v_mul_f64 v[18:19], v[20:21], v[138:139]
	s_waitcnt vmcnt(3) lgkmcnt(0)
	v_mul_f64 v[104:105], v[85:86], v[142:143]
	v_fma_f64 v[36:37], v[14:15], v[120:121], -v[8:9]
	v_mul_f64 v[8:9], v[83:84], v[142:143]
	v_fma_f64 v[40:41], v[4:5], v[112:113], v[40:41]
	v_fma_f64 v[44:45], v[6:7], v[112:113], -v[44:45]
	ds_read_b128 v[4:7], v103 offset:36288
	v_fma_f64 v[28:29], v[12:13], v[120:121], v[106:107]
	ds_read_b128 v[10:13], v103 offset:37584
	v_fma_f64 v[30:31], v[20:21], v[136:137], v[16:17]
	v_fma_f64 v[34:35], v[22:23], v[136:137], -v[18:19]
	s_waitcnt vmcnt(2) lgkmcnt(1)
	v_mul_f64 v[14:15], v[6:7], v[146:147]
	v_fma_f64 v[20:21], v[83:84], v[140:141], v[104:105]
	s_waitcnt vmcnt(1)
	v_mul_f64 v[83:84], v[126:127], v[154:155]
	v_fma_f64 v[22:23], v[85:86], v[140:141], -v[8:9]
	v_mul_f64 v[85:86], v[124:125], v[154:155]
	v_mul_f64 v[106:107], v[4:5], v[146:147]
	v_add_f64 v[104:105], v[75:76], v[160:161]
	v_add_f64 v[108:109], v[128:129], v[148:149]
	v_fma_f64 v[16:17], v[4:5], v[144:145], v[14:15]
	s_waitcnt vmcnt(0) lgkmcnt(0)
	v_mul_f64 v[4:5], v[12:13], v[2:3]
	v_fma_f64 v[8:9], v[124:125], v[152:153], v[83:84]
	v_add_f64 v[83:84], v[164:165], v[118:119]
	v_fma_f64 v[14:15], v[126:127], v[152:153], -v[85:86]
	v_add_f64 v[85:86], v[77:78], v[164:165]
	v_fma_f64 v[18:19], v[6:7], v[144:145], -v[106:107]
	v_add_f64 v[6:7], v[160:161], v[116:117]
	v_mul_f64 v[2:3], v[10:11], v[2:3]
	v_fma_f64 v[10:11], v[10:11], v[0:1], v[4:5]
	v_add_f64 v[112:113], v[160:161], -v[116:117]
	v_fma_f64 v[110:111], v[83:84], -0.5, v[77:78]
	v_add_f64 v[120:121], v[130:131], -v[150:151]
	v_add_f64 v[77:78], v[85:86], v[118:119]
	v_add_f64 v[85:86], v[130:131], v[150:151]
	v_fma_f64 v[4:5], v[6:7], -0.5, v[75:76]
	v_add_f64 v[6:7], v[164:165], -v[118:119]
	v_fma_f64 v[12:13], v[12:13], v[0:1], -v[2:3]
	ds_read_b128 v[0:3], v56
	v_add_f64 v[75:76], v[104:105], v[116:117]
	ds_read_b128 v[104:107], v55
	v_add_f64 v[122:123], v[128:129], -v[148:149]
	s_waitcnt lgkmcnt(1)
	v_fma_f64 v[118:119], v[108:109], -0.5, v[0:1]
	v_add_f64 v[114:115], v[2:3], v[130:131]
	v_add_f64 v[0:1], v[0:1], v[128:129]
	v_fma_f64 v[2:3], v[85:86], -0.5, v[2:3]
	v_fma_f64 v[83:84], v[6:7], s[4:5], v[4:5]
	v_fma_f64 v[85:86], v[112:113], s[6:7], v[110:111]
	;; [unrolled: 1-line block ×6, first 2 shown]
	v_add_f64 v[112:113], v[0:1], v[148:149]
	v_fma_f64 v[118:119], v[122:123], s[6:7], v[2:3]
	v_fma_f64 v[122:123], v[122:123], s[4:5], v[2:3]
	ds_read_b128 v[124:127], v53
	ds_read_b128 v[128:131], v52
	ds_read_b128 v[132:135], v51
	ds_read_b128 v[136:139], v50
	ds_read_b128 v[4:7], v49
	ds_read_b128 v[0:3], v48
	s_waitcnt lgkmcnt(0)
	s_barrier
	ds_write_b128 v103, v[75:78]
	ds_write_b128 v103, v[83:86] offset:1440
	v_mov_b32_e32 v77, 0x10e0
	v_add_f64 v[75:76], v[170:171], v[156:157]
	v_cndmask_b32_e32 v83, 0, v77, vcc
	v_add_f64 v[77:78], v[172:173], v[158:159]
	v_add_f64 v[114:115], v[114:115], v[150:151]
	ds_write_b128 v103, v[108:111] offset:2880
	v_add3_u32 v64, 0, v83, v64
	v_add_f64 v[83:84], v[104:105], v[170:171]
	v_add_f64 v[108:109], v[170:171], -v[156:157]
	v_fma_f64 v[85:86], v[75:76], -0.5, v[104:105]
	v_add_f64 v[75:76], v[106:107], v[172:173]
	v_add_f64 v[104:105], v[172:173], -v[158:159]
	v_fma_f64 v[106:107], v[77:78], -0.5, v[106:107]
	ds_write_b128 v64, v[112:115]
	ds_write_b128 v64, v[116:119] offset:1440
	ds_write_b128 v64, v[120:123] offset:2880
	v_add_f64 v[110:111], v[162:163], v[168:169]
	v_add_f64 v[64:65], v[166:167], v[174:175]
	v_add_f64 v[112:113], v[166:167], -v[174:175]
	v_add_f64 v[77:78], v[75:76], v[158:159]
	v_add_f64 v[75:76], v[83:84], v[156:157]
	v_fma_f64 v[83:84], v[104:105], s[4:5], v[85:86]
	v_fma_f64 v[104:105], v[104:105], s[6:7], v[85:86]
	;; [unrolled: 1-line block ×4, first 2 shown]
	v_fma_f64 v[108:109], v[110:111], -0.5, v[79:80]
	v_add_f64 v[110:111], v[81:82], v[166:167]
	v_add_f64 v[79:80], v[79:80], v[162:163]
	ds_write_b128 v58, v[75:78]
	v_fma_f64 v[63:64], v[64:65], -0.5, v[81:82]
	v_add_f64 v[114:115], v[162:163], -v[168:169]
	ds_write_b128 v58, v[83:86] offset:1440
	ds_write_b128 v58, v[104:107] offset:2880
	v_add_f64 v[104:105], v[176:177], v[180:181]
	v_mul_u32_u24_e32 v58, 0x10e0, v60
	v_lshlrev_b32_e32 v60, 4, v61
	v_add_f64 v[77:78], v[110:111], v[174:175]
	v_add_f64 v[75:76], v[79:80], v[168:169]
	v_fma_f64 v[79:80], v[112:113], s[4:5], v[108:109]
	v_fma_f64 v[83:84], v[112:113], s[6:7], v[108:109]
	;; [unrolled: 1-line block ×4, first 2 shown]
	v_add_f64 v[63:64], v[178:179], v[182:183]
	v_add3_u32 v58, 0, v58, v60
	v_fma_f64 v[60:61], v[104:105], -0.5, v[124:125]
	v_add_f64 v[104:105], v[126:127], v[178:179]
	v_add_f64 v[106:107], v[124:125], v[176:177]
	v_add_f64 v[108:109], v[178:179], -v[182:183]
	v_add_f64 v[110:111], v[176:177], -v[180:181]
	ds_write_b128 v58, v[75:78]
	ds_write_b128 v58, v[79:82] offset:1440
	ds_write_b128 v58, v[83:86] offset:2880
	v_fma_f64 v[63:64], v[63:64], -0.5, v[126:127]
	v_add_f64 v[77:78], v[104:105], v[182:183]
	v_add_f64 v[75:76], v[106:107], v[180:181]
	v_fma_f64 v[79:80], v[108:109], s[4:5], v[60:61]
	v_add_f64 v[104:105], v[32:33], v[184:185]
	v_fma_f64 v[83:84], v[108:109], s[6:7], v[60:61]
	v_mul_u32_u24_e32 v60, 0x10e0, v59
	v_add_f64 v[58:59], v[38:39], v[186:187]
	v_lshlrev_b32_e32 v61, 4, v62
	v_add3_u32 v87, 0, v60, v61
	v_fma_f64 v[81:82], v[110:111], s[6:7], v[63:64]
	v_fma_f64 v[85:86], v[110:111], s[4:5], v[63:64]
	v_fma_f64 v[64:65], v[104:105], -0.5, v[128:129]
	v_add_f64 v[60:61], v[130:131], v[38:39]
	v_add_f64 v[62:63], v[128:129], v[32:33]
	v_add_f64 v[38:39], v[38:39], -v[186:187]
	ds_write_b128 v87, v[75:78]
	v_fma_f64 v[77:78], v[58:59], -0.5, v[130:131]
	v_add_f64 v[32:33], v[32:33], -v[184:185]
	ds_write_b128 v87, v[79:82] offset:1440
	ds_write_b128 v87, v[83:86] offset:2880
	v_add_f64 v[79:80], v[42:43], v[40:41]
	v_add_f64 v[60:61], v[60:61], v[186:187]
	;; [unrolled: 1-line block ×3, first 2 shown]
	v_fma_f64 v[62:63], v[38:39], s[4:5], v[64:65]
	v_fma_f64 v[75:76], v[38:39], s[6:7], v[64:65]
	v_mul_u32_u24_e32 v38, 0x10e0, v74
	v_fma_f64 v[64:65], v[32:33], s[6:7], v[77:78]
	v_fma_f64 v[77:78], v[32:33], s[4:5], v[77:78]
	v_add_f64 v[32:33], v[188:189], v[44:45]
	v_lshlrev_b32_e32 v39, 4, v73
	v_add_f64 v[73:74], v[134:135], v[188:189]
	v_add_f64 v[83:84], v[42:43], -v[40:41]
	v_add3_u32 v85, 0, v38, v39
	v_fma_f64 v[38:39], v[79:80], -0.5, v[132:133]
	v_add_f64 v[81:82], v[188:189], -v[44:45]
	v_add_f64 v[79:80], v[132:133], v[42:43]
	v_fma_f64 v[32:33], v[32:33], -0.5, v[134:135]
	ds_write_b128 v85, v[58:61]
	v_add_f64 v[42:43], v[73:74], v[44:45]
	v_add_f64 v[44:45], v[28:29], v[30:31]
	ds_write_b128 v85, v[62:65] offset:1440
	ds_write_b128 v85, v[75:78] offset:2880
	v_fma_f64 v[58:59], v[81:82], s[4:5], v[38:39]
	v_fma_f64 v[62:63], v[81:82], s[6:7], v[38:39]
	v_fma_f64 v[60:61], v[83:84], s[6:7], v[32:33]
	v_fma_f64 v[64:65], v[83:84], s[4:5], v[32:33]
	v_add_f64 v[32:33], v[36:37], v[34:35]
	v_mul_u32_u24_e32 v38, 0x10e0, v71
	v_lshlrev_b32_e32 v39, 4, v72
	v_add3_u32 v75, 0, v38, v39
	v_fma_f64 v[38:39], v[44:45], -0.5, v[136:137]
	v_add_f64 v[44:45], v[138:139], v[36:37]
	v_add_f64 v[71:72], v[136:137], v[28:29]
	v_add_f64 v[36:37], v[36:37], -v[34:35]
	v_fma_f64 v[73:74], v[32:33], -0.5, v[138:139]
	v_add_f64 v[28:29], v[28:29], -v[30:31]
	v_add_f64 v[40:41], v[79:80], v[40:41]
	ds_write_b128 v75, v[40:43]
	ds_write_b128 v75, v[58:61] offset:1440
	ds_write_b128 v75, v[62:65] offset:2880
	v_add_f64 v[32:33], v[44:45], v[34:35]
	v_add_f64 v[30:31], v[71:72], v[30:31]
	v_fma_f64 v[34:35], v[36:37], s[4:5], v[38:39]
	v_fma_f64 v[38:39], v[36:37], s[6:7], v[38:39]
	;; [unrolled: 1-line block ×3, first 2 shown]
	v_mul_u32_u24_e32 v44, 0x10e0, v70
	v_lshlrev_b32_e32 v45, 4, v69
	v_fma_f64 v[40:41], v[28:29], s[4:5], v[73:74]
	v_add_f64 v[28:29], v[20:21], v[16:17]
	v_add_f64 v[42:43], v[22:23], v[18:19]
	v_add3_u32 v44, 0, v44, v45
	ds_write_b128 v44, v[30:33]
	ds_write_b128 v44, v[34:37] offset:1440
	v_add_f64 v[30:31], v[6:7], v[22:23]
	v_add_f64 v[32:33], v[4:5], v[20:21]
	v_add_f64 v[22:23], v[22:23], -v[18:19]
	v_add_f64 v[36:37], v[20:21], -v[16:17]
	v_fma_f64 v[28:29], v[28:29], -0.5, v[4:5]
	v_fma_f64 v[34:35], v[42:43], -0.5, v[6:7]
	v_add_f64 v[42:43], v[8:9], v[10:11]
	ds_write_b128 v44, v[38:41] offset:2880
	v_add_f64 v[6:7], v[30:31], v[18:19]
	v_add_f64 v[30:31], v[14:15], v[12:13]
	;; [unrolled: 1-line block ×4, first 2 shown]
	v_fma_f64 v[16:17], v[22:23], s[4:5], v[28:29]
	v_fma_f64 v[20:21], v[22:23], s[6:7], v[28:29]
	v_fma_f64 v[28:29], v[42:43], -0.5, v[0:1]
	v_add_f64 v[0:1], v[0:1], v[8:9]
	v_add_f64 v[14:15], v[14:15], -v[12:13]
	v_fma_f64 v[30:31], v[30:31], -0.5, v[2:3]
	v_add_f64 v[38:39], v[8:9], -v[10:11]
	v_fma_f64 v[18:19], v[36:37], s[6:7], v[34:35]
	v_add_f64 v[2:3], v[32:33], v[12:13]
	v_fma_f64 v[22:23], v[36:37], s[4:5], v[34:35]
	v_mul_u32_u24_e32 v34, 0x10e0, v67
	v_add_f64 v[0:1], v[0:1], v[10:11]
	v_fma_f64 v[8:9], v[14:15], s[4:5], v[28:29]
	v_fma_f64 v[12:13], v[14:15], s[6:7], v[28:29]
	;; [unrolled: 1-line block ×4, first 2 shown]
	v_lshlrev_b32_e32 v35, 4, v68
	v_add3_u32 v28, 0, v34, v35
	ds_write_b128 v28, v[4:7]
	ds_write_b128 v28, v[16:19] offset:1440
	ds_write_b128 v28, v[20:23] offset:2880
	v_lshl_add_u32 v4, v66, 4, 0
	ds_write_b128 v4, v[0:3] offset:34560
	ds_write_b128 v4, v[8:11] offset:36000
	ds_write_b128 v4, v[12:15] offset:37440
	v_add_co_u32_e32 v4, vcc, s10, v26
	v_addc_co_u32_e32 v5, vcc, 0, v27, vcc
	v_add_co_u32_e32 v0, vcc, s11, v26
	v_addc_co_u32_e32 v1, vcc, 0, v27, vcc
	s_waitcnt lgkmcnt(0)
	s_barrier
	global_load_dwordx4 v[0:3], v[0:1], off offset:64
	s_nop 0
	global_load_dwordx4 v[4:7], v[4:5], off offset:16
	v_lshlrev_b32_e32 v8, 1, v92
	v_mov_b32_e32 v9, v25
	v_lshlrev_b64 v[8:9], 4, v[8:9]
	v_lshlrev_b32_e32 v16, 1, v101
	v_add_co_u32_e32 v28, vcc, s8, v8
	v_addc_co_u32_e32 v29, vcc, v57, v9, vcc
	v_add_co_u32_e32 v8, vcc, s11, v28
	v_addc_co_u32_e32 v9, vcc, 0, v29, vcc
	v_mov_b32_e32 v17, v25
	v_add_co_u32_e32 v12, vcc, s10, v28
	v_lshlrev_b64 v[16:17], 4, v[16:17]
	v_addc_co_u32_e32 v13, vcc, 0, v29, vcc
	v_add_co_u32_e32 v30, vcc, s8, v16
	v_addc_co_u32_e32 v31, vcc, v57, v17, vcc
	v_add_co_u32_e32 v32, vcc, s10, v30
	;; [unrolled: 2-line block ×3, first 2 shown]
	v_addc_co_u32_e32 v35, vcc, 0, v31, vcc
	global_load_dwordx4 v[8:11], v[8:9], off offset:64
	v_cmp_gt_u32_e32 vcc, 27, v88
	global_load_dwordx4 v[12:15], v[12:13], off offset:16
	s_nop 0
	global_load_dwordx4 v[16:19], v[34:35], off offset:64
	global_load_dwordx4 v[20:23], v[32:33], off offset:16
	v_subrev_u32_e32 v32, 27, v88
	v_cndmask_b32_e32 v32, v32, v100, vcc
	v_lshlrev_b32_e32 v33, 1, v32
	v_mov_b32_e32 v34, v25
	v_lshlrev_b64 v[33:34], 4, v[33:34]
	v_add_co_u32_e32 v35, vcc, s8, v33
	v_addc_co_u32_e32 v36, vcc, v57, v34, vcc
	v_add_co_u32_e32 v33, vcc, s11, v35
	v_addc_co_u32_e32 v34, vcc, 0, v36, vcc
	;; [unrolled: 2-line block ×3, first 2 shown]
	global_load_dwordx4 v[37:40], v[33:34], off offset:64
	global_load_dwordx4 v[41:44], v[35:36], off offset:16
	ds_read_b128 v[58:61], v103 offset:12960
	ds_read_b128 v[62:65], v103
	v_add_u32_e32 v33, 0x6c, v24
	v_mov_b32_e32 v34, v25
	v_lshlrev_b64 v[33:34], 4, v[33:34]
	v_add_u32_e32 v24, 0x10e, v24
	v_add_co_u32_e32 v45, vcc, s8, v33
	v_addc_co_u32_e32 v93, vcc, v57, v34, vcc
	v_add_co_u32_e32 v35, vcc, s11, v45
	v_addc_co_u32_e32 v36, vcc, 0, v93, vcc
	ds_read_b128 v[66:69], v103 offset:25920
	ds_read_b128 v[70:73], v103 offset:24624
	;; [unrolled: 1-line block ×6, first 2 shown]
	s_waitcnt vmcnt(7) lgkmcnt(7)
	v_mul_f64 v[33:34], v[60:61], v[2:3]
	v_mul_f64 v[2:3], v[58:59], v[2:3]
	s_waitcnt vmcnt(6) lgkmcnt(5)
	v_mul_f64 v[86:87], v[68:69], v[6:7]
	v_mul_f64 v[6:7], v[66:67], v[6:7]
	v_fma_f64 v[58:59], v[58:59], v[0:1], v[33:34]
	v_add_co_u32_e32 v33, vcc, s10, v45
	v_addc_co_u32_e32 v34, vcc, 0, v93, vcc
	global_load_dwordx4 v[108:111], v[35:36], off offset:64
	global_load_dwordx4 v[112:115], v[33:34], off offset:16
	v_lshlrev_b64 v[33:34], 4, v[24:25]
	v_fma_f64 v[60:61], v[60:61], v[0:1], -v[2:3]
	v_add_co_u32_e32 v24, vcc, s8, v33
	v_addc_co_u32_e32 v36, vcc, v57, v34, vcc
	v_add_co_u32_e32 v33, vcc, s11, v24
	v_addc_co_u32_e32 v34, vcc, 0, v36, vcc
	v_add_co_u32_e32 v35, vcc, s10, v24
	v_mul_u32_u24_sdwa v24, v97, s12 dst_sel:DWORD dst_unused:UNUSED_PAD src0_sel:WORD_0 src1_sel:DWORD
	v_addc_co_u32_e32 v36, vcc, 0, v36, vcc
	global_load_dwordx4 v[116:119], v[33:34], off offset:64
	global_load_dwordx4 v[120:123], v[35:36], off offset:16
	v_lshrrev_b32_e32 v35, 23, v24
	v_mul_lo_u16_e32 v24, 0x10e, v35
	v_sub_u16_e32 v36, v97, v24
	v_lshlrev_b32_e32 v24, 5, v36
	v_add_co_u32_e32 v24, vcc, s8, v24
	v_addc_co_u32_e32 v45, vcc, 0, v57, vcc
	v_add_co_u32_e32 v33, vcc, s11, v24
	v_addc_co_u32_e32 v34, vcc, 0, v45, vcc
	v_add_co_u32_e32 v128, vcc, s10, v24
	v_mul_u32_u24_sdwa v24, v96, s12 dst_sel:DWORD dst_unused:UNUSED_PAD src0_sel:WORD_0 src1_sel:DWORD
	v_lshrrev_b32_e32 v24, 23, v24
	v_addc_co_u32_e32 v129, vcc, 0, v45, vcc
	v_mul_lo_u16_e32 v24, 0x10e, v24
	global_load_dwordx4 v[124:127], v[33:34], off offset:64
	s_nop 0
	global_load_dwordx4 v[128:131], v[128:129], off offset:16
	v_sub_u16_e32 v34, v96, v24
	v_lshlrev_b32_e32 v24, 5, v34
	v_add_co_u32_e32 v24, vcc, s8, v24
	v_addc_co_u32_e32 v33, vcc, 0, v57, vcc
	v_add_co_u32_e32 v132, vcc, s11, v24
	v_addc_co_u32_e32 v133, vcc, 0, v33, vcc
	v_add_co_u32_e32 v136, vcc, s10, v24
	v_mul_u32_u24_sdwa v24, v95, s12 dst_sel:DWORD dst_unused:UNUSED_PAD src0_sel:WORD_0 src1_sel:DWORD
	v_lshrrev_b32_e32 v24, 23, v24
	v_addc_co_u32_e32 v137, vcc, 0, v33, vcc
	v_mul_lo_u16_e32 v24, 0x10e, v24
	global_load_dwordx4 v[132:135], v[132:133], off offset:64
	s_nop 0
	global_load_dwordx4 v[136:139], v[136:137], off offset:16
	v_sub_u16_e32 v24, v95, v24
	v_lshlrev_b32_e32 v33, 5, v24
	v_add_co_u32_e32 v33, vcc, s8, v33
	v_addc_co_u32_e32 v45, vcc, 0, v57, vcc
	v_add_co_u32_e32 v140, vcc, s11, v33
	v_addc_co_u32_e32 v141, vcc, 0, v45, vcc
	v_add_co_u32_e32 v144, vcc, s10, v33
	v_mul_u32_u24_sdwa v33, v94, s12 dst_sel:DWORD dst_unused:UNUSED_PAD src0_sel:WORD_0 src1_sel:DWORD
	v_lshrrev_b32_e32 v33, 23, v33
	v_mul_lo_u16_e32 v33, 0x10e, v33
	v_sub_u16_e32 v33, v94, v33
	v_addc_co_u32_e32 v145, vcc, 0, v45, vcc
	v_lshlrev_b32_e32 v45, 5, v33
	v_add_co_u32_e32 v45, vcc, s8, v45
	global_load_dwordx4 v[140:143], v[140:141], off offset:64
	s_nop 0
	global_load_dwordx4 v[144:147], v[144:145], off offset:16
	v_addc_co_u32_e32 v93, vcc, 0, v57, vcc
	v_add_co_u32_e32 v148, vcc, s11, v45
	v_addc_co_u32_e32 v149, vcc, 0, v93, vcc
	global_load_dwordx4 v[148:151], v[148:149], off offset:64
	v_add_co_u32_e32 v152, vcc, s10, v45
	v_addc_co_u32_e32 v153, vcc, 0, v93, vcc
	global_load_dwordx4 v[152:155], v[152:153], off offset:16
	s_waitcnt vmcnt(17) lgkmcnt(3)
	v_mul_f64 v[156:157], v[76:77], v[10:11]
	v_mul_f64 v[10:11], v[74:75], v[10:11]
	s_waitcnt vmcnt(16) lgkmcnt(1)
	v_mul_f64 v[158:159], v[80:81], v[14:15]
	v_mul_f64 v[14:15], v[78:79], v[14:15]
	v_fma_f64 v[66:67], v[66:67], v[4:5], v[86:87]
	v_fma_f64 v[68:69], v[68:69], v[4:5], -v[6:7]
	ds_read_b128 v[0:3], v103 offset:16848
	s_waitcnt vmcnt(14) lgkmcnt(1)
	v_mul_f64 v[86:87], v[106:107], v[22:23]
	v_fma_f64 v[74:75], v[74:75], v[8:9], v[156:157]
	v_fma_f64 v[76:77], v[76:77], v[8:9], -v[10:11]
	ds_read_b128 v[4:7], v103 offset:18144
	ds_read_b128 v[8:11], v103 offset:29808
	v_fma_f64 v[78:79], v[78:79], v[12:13], v[158:159]
	v_mul_f64 v[22:23], v[104:105], v[22:23]
	s_waitcnt vmcnt(13) lgkmcnt(2)
	v_mul_f64 v[156:157], v[2:3], v[39:40]
	v_mul_f64 v[39:40], v[0:1], v[39:40]
	s_waitcnt vmcnt(12) lgkmcnt(0)
	v_mul_f64 v[158:159], v[10:11], v[43:44]
	v_fma_f64 v[80:81], v[80:81], v[12:13], -v[14:15]
	v_mul_f64 v[12:13], v[84:85], v[18:19]
	v_mul_f64 v[18:19], v[82:83], v[18:19]
	v_fma_f64 v[86:87], v[104:105], v[20:21], v[86:87]
	v_fma_f64 v[104:105], v[106:107], v[20:21], -v[22:23]
	v_mul_f64 v[20:21], v[8:9], v[43:44]
	s_waitcnt vmcnt(11)
	v_mul_f64 v[22:23], v[6:7], v[110:111]
	v_fma_f64 v[158:159], v[8:9], v[41:42], v[158:159]
	v_mul_f64 v[8:9], v[4:5], v[110:111]
	v_fma_f64 v[106:107], v[0:1], v[37:38], v[156:157]
	v_fma_f64 v[156:157], v[2:3], v[37:38], -v[39:40]
	ds_read_b128 v[0:3], v103 offset:19440
	v_fma_f64 v[82:83], v[82:83], v[16:17], v[12:13]
	ds_read_b128 v[12:15], v103 offset:31104
	v_fma_f64 v[84:85], v[84:85], v[16:17], -v[18:19]
	ds_read_b128 v[16:19], v103 offset:20736
	s_waitcnt vmcnt(9) lgkmcnt(2)
	v_mul_f64 v[43:44], v[2:3], v[118:119]
	v_mul_f64 v[110:111], v[0:1], v[118:119]
	v_fma_f64 v[160:161], v[4:5], v[108:109], v[22:23]
	v_fma_f64 v[162:163], v[6:7], v[108:109], -v[8:9]
	ds_read_b128 v[4:7], v103 offset:32400
	s_waitcnt lgkmcnt(2)
	v_mul_f64 v[37:38], v[14:15], v[114:115]
	v_mul_f64 v[39:40], v[12:13], v[114:115]
	v_fma_f64 v[114:115], v[10:11], v[41:42], -v[20:21]
	v_fma_f64 v[168:169], v[0:1], v[116:117], v[43:44]
	v_fma_f64 v[170:171], v[2:3], v[116:117], -v[110:111]
	ds_read_b128 v[20:23], v54
	ds_read_b128 v[0:3], v103 offset:33696
	s_waitcnt vmcnt(8) lgkmcnt(2)
	v_mul_f64 v[41:42], v[6:7], v[122:123]
	v_fma_f64 v[164:165], v[12:13], v[112:113], v[37:38]
	v_fma_f64 v[166:167], v[14:15], v[112:113], -v[39:40]
	ds_read_b128 v[8:11], v103 offset:22032
	ds_read_b128 v[12:15], v103 offset:34992
	v_mul_f64 v[43:44], v[4:5], v[122:123]
	s_waitcnt vmcnt(6) lgkmcnt(2)
	v_mul_f64 v[112:113], v[2:3], v[130:131]
	v_mul_f64 v[116:117], v[0:1], v[130:131]
	s_waitcnt vmcnt(5) lgkmcnt(1)
	v_mul_f64 v[118:119], v[10:11], v[134:135]
	v_mul_f64 v[108:109], v[18:19], v[126:127]
	;; [unrolled: 1-line block ×3, first 2 shown]
	ds_read_b128 v[37:40], v103 offset:23328
	v_fma_f64 v[172:173], v[4:5], v[120:121], v[41:42]
	v_fma_f64 v[174:175], v[6:7], v[120:121], -v[43:44]
	v_fma_f64 v[180:181], v[0:1], v[128:129], v[112:113]
	v_fma_f64 v[182:183], v[2:3], v[128:129], -v[116:117]
	v_mul_f64 v[4:5], v[8:9], v[134:135]
	v_fma_f64 v[134:135], v[8:9], v[132:133], v[118:119]
	s_waitcnt vmcnt(4) lgkmcnt(1)
	v_mul_f64 v[6:7], v[14:15], v[138:139]
	ds_read_b128 v[0:3], v103 offset:36288
	v_mul_f64 v[8:9], v[12:13], v[138:139]
	v_fma_f64 v[176:177], v[16:17], v[124:125], v[108:109]
	v_fma_f64 v[178:179], v[18:19], v[124:125], -v[110:111]
	ds_read_b128 v[16:19], v103 offset:37584
	s_waitcnt vmcnt(3) lgkmcnt(2)
	v_mul_f64 v[41:42], v[39:40], v[142:143]
	v_mul_f64 v[43:44], v[37:38], v[142:143]
	s_waitcnt vmcnt(2) lgkmcnt(1)
	v_mul_f64 v[110:111], v[0:1], v[146:147]
	v_mul_f64 v[108:109], v[2:3], v[146:147]
	v_fma_f64 v[138:139], v[12:13], v[136:137], v[6:7]
	v_fma_f64 v[136:137], v[14:15], v[136:137], -v[8:9]
	v_fma_f64 v[132:133], v[10:11], v[132:133], -v[4:5]
	s_waitcnt vmcnt(1)
	v_mul_f64 v[8:9], v[72:73], v[150:151]
	v_fma_f64 v[4:5], v[37:38], v[140:141], v[41:42]
	v_fma_f64 v[140:141], v[39:40], v[140:141], -v[43:44]
	v_fma_f64 v[12:13], v[2:3], v[144:145], -v[110:111]
	v_mul_f64 v[2:3], v[70:71], v[150:151]
	s_waitcnt vmcnt(0) lgkmcnt(0)
	v_mul_f64 v[14:15], v[18:19], v[154:155]
	v_add_f64 v[37:38], v[58:59], v[66:67]
	v_add_f64 v[43:44], v[62:63], v[58:59]
	v_fma_f64 v[6:7], v[0:1], v[144:145], v[108:109]
	v_fma_f64 v[0:1], v[70:71], v[148:149], v[8:9]
	v_mul_f64 v[8:9], v[16:17], v[154:155]
	v_add_f64 v[39:40], v[60:61], v[68:69]
	v_add_f64 v[41:42], v[64:65], v[60:61]
	v_fma_f64 v[10:11], v[72:73], v[148:149], -v[2:3]
	v_fma_f64 v[2:3], v[16:17], v[152:153], v[14:15]
	v_fma_f64 v[62:63], v[37:38], -0.5, v[62:63]
	v_add_f64 v[60:61], v[60:61], -v[68:69]
	v_add_f64 v[14:15], v[43:44], v[66:67]
	v_add_f64 v[43:44], v[74:75], v[78:79]
	v_fma_f64 v[8:9], v[18:19], v[152:153], -v[8:9]
	v_fma_f64 v[18:19], v[39:40], -0.5, v[64:65]
	ds_read_b128 v[37:40], v56
	v_add_f64 v[16:17], v[41:42], v[68:69]
	v_add_f64 v[66:67], v[58:59], -v[66:67]
	v_fma_f64 v[41:42], v[60:61], s[4:5], v[62:63]
	v_fma_f64 v[58:59], v[60:61], s[6:7], v[62:63]
	ds_read_b128 v[62:65], v55
	v_add_f64 v[68:69], v[76:77], v[80:81]
	s_waitcnt lgkmcnt(1)
	v_add_f64 v[70:71], v[39:40], v[76:77]
	v_fma_f64 v[72:73], v[43:44], -0.5, v[37:38]
	v_add_f64 v[37:38], v[37:38], v[74:75]
	v_add_f64 v[76:77], v[76:77], -v[80:81]
	v_fma_f64 v[43:44], v[66:67], s[6:7], v[18:19]
	v_fma_f64 v[60:61], v[66:67], s[4:5], v[18:19]
	v_add_f64 v[74:75], v[74:75], -v[78:79]
	v_fma_f64 v[18:19], v[68:69], -0.5, v[39:40]
	v_add_f64 v[39:40], v[70:71], v[80:81]
	v_add_f64 v[80:81], v[82:83], v[86:87]
	;; [unrolled: 1-line block ×3, first 2 shown]
	v_fma_f64 v[66:67], v[76:77], s[4:5], v[72:73]
	v_fma_f64 v[70:71], v[76:77], s[6:7], v[72:73]
	v_add_f64 v[76:77], v[84:85], v[104:105]
	s_waitcnt lgkmcnt(0)
	v_add_f64 v[78:79], v[64:65], v[84:85]
	v_add_f64 v[108:109], v[62:63], v[82:83]
	;; [unrolled: 1-line block ×3, first 2 shown]
	v_fma_f64 v[80:81], v[80:81], -0.5, v[62:63]
	v_add_f64 v[84:85], v[84:85], -v[104:105]
	v_fma_f64 v[68:69], v[74:75], s[6:7], v[18:19]
	v_fma_f64 v[72:73], v[74:75], s[4:5], v[18:19]
	v_fma_f64 v[76:77], v[76:77], -0.5, v[64:65]
	v_add_f64 v[64:65], v[78:79], v[104:105]
	v_add_f64 v[78:79], v[82:83], -v[86:87]
	v_add_f64 v[74:75], v[156:157], v[114:115]
	v_add_f64 v[62:63], v[108:109], v[86:87]
	v_fma_f64 v[86:87], v[110:111], -0.5, v[20:21]
	v_add_f64 v[82:83], v[22:23], v[156:157]
	v_add_f64 v[104:105], v[20:21], v[106:107]
	v_add_f64 v[108:109], v[156:157], -v[114:115]
	v_fma_f64 v[18:19], v[84:85], s[4:5], v[80:81]
	v_fma_f64 v[20:21], v[78:79], s[6:7], v[76:77]
	v_fma_f64 v[22:23], v[74:75], -0.5, v[22:23]
	v_fma_f64 v[74:75], v[84:85], s[6:7], v[80:81]
	v_fma_f64 v[76:77], v[78:79], s[4:5], v[76:77]
	v_add_f64 v[80:81], v[82:83], v[114:115]
	v_add_f64 v[78:79], v[104:105], v[158:159]
	v_fma_f64 v[82:83], v[108:109], s[4:5], v[86:87]
	v_fma_f64 v[104:105], v[108:109], s[6:7], v[86:87]
	ds_read_b128 v[108:111], v53
	ds_read_b128 v[112:115], v52
	;; [unrolled: 1-line block ×6, first 2 shown]
	s_waitcnt lgkmcnt(0)
	s_barrier
	ds_write_b128 v103, v[14:17]
	ds_write_b128 v103, v[41:44] offset:4320
	ds_write_b128 v103, v[58:61] offset:8640
	ds_write_b128 v56, v[37:40]
	ds_write_b128 v56, v[66:69] offset:4320
	ds_write_b128 v56, v[70:73] offset:8640
	;; [unrolled: 3-line block ×3, first 2 shown]
	v_mov_b32_e32 v16, 0x32a0
	v_cmp_lt_u32_e32 vcc, 26, v88
	v_add_f64 v[106:107], v[106:107], -v[158:159]
	v_add_f64 v[14:15], v[160:161], v[164:165]
	v_cndmask_b32_e32 v16, 0, v16, vcc
	v_lshlrev_b32_e32 v17, 4, v32
	v_add3_u32 v32, 0, v16, v17
	v_add_f64 v[16:17], v[162:163], v[166:167]
	v_add_f64 v[18:19], v[110:111], v[162:163]
	v_add_f64 v[41:42], v[160:161], -v[164:165]
	v_fma_f64 v[84:85], v[106:107], s[6:7], v[22:23]
	v_fma_f64 v[106:107], v[106:107], s[4:5], v[22:23]
	v_fma_f64 v[20:21], v[14:15], -0.5, v[108:109]
	v_add_f64 v[14:15], v[108:109], v[160:161]
	v_add_f64 v[22:23], v[162:163], -v[166:167]
	v_fma_f64 v[39:40], v[16:17], -0.5, v[110:111]
	v_add_f64 v[16:17], v[18:19], v[166:167]
	v_add_f64 v[43:44], v[168:169], v[172:173]
	;; [unrolled: 1-line block ×4, first 2 shown]
	ds_write_b128 v32, v[78:81]
	v_add_f64 v[14:15], v[14:15], v[164:165]
	v_fma_f64 v[18:19], v[22:23], s[4:5], v[20:21]
	v_fma_f64 v[37:38], v[22:23], s[6:7], v[20:21]
	v_add_f64 v[22:23], v[170:171], v[174:175]
	v_fma_f64 v[20:21], v[41:42], s[6:7], v[39:40]
	ds_write_b128 v32, v[82:85] offset:4320
	ds_write_b128 v32, v[104:107] offset:8640
	v_add_f64 v[58:59], v[114:115], v[170:171]
	v_add_f64 v[60:61], v[112:113], v[168:169]
	v_fma_f64 v[62:63], v[43:44], -0.5, v[112:113]
	v_add_f64 v[64:65], v[170:171], -v[174:175]
	v_add_f64 v[70:71], v[168:169], -v[172:173]
	v_fma_f64 v[22:23], v[22:23], -0.5, v[114:115]
	ds_write_b128 v103, v[14:17] offset:13824
	ds_write_b128 v103, v[18:21] offset:18144
	v_add_f64 v[14:15], v[134:135], v[138:139]
	v_fma_f64 v[39:40], v[41:42], s[4:5], v[39:40]
	v_fma_f64 v[72:73], v[66:67], -0.5, v[116:117]
	v_add_f64 v[66:67], v[118:119], v[178:179]
	v_add_f64 v[74:75], v[116:117], v[176:177]
	v_add_f64 v[76:77], v[178:179], -v[182:183]
	v_fma_f64 v[78:79], v[68:69], -0.5, v[118:119]
	v_add_f64 v[80:81], v[176:177], -v[180:181]
	v_add_f64 v[16:17], v[132:133], v[136:137]
	v_add_f64 v[43:44], v[58:59], v[174:175]
	v_add_f64 v[41:42], v[60:61], v[172:173]
	v_fma_f64 v[58:59], v[64:65], s[4:5], v[62:63]
	v_fma_f64 v[62:63], v[64:65], s[6:7], v[62:63]
	;; [unrolled: 1-line block ×4, first 2 shown]
	v_fma_f64 v[22:23], v[14:15], -0.5, v[120:121]
	v_add_f64 v[14:15], v[122:123], v[132:133]
	v_add_f64 v[18:19], v[120:121], v[134:135]
	;; [unrolled: 1-line block ×4, first 2 shown]
	v_fma_f64 v[70:71], v[76:77], s[4:5], v[72:73]
	v_fma_f64 v[74:75], v[76:77], s[6:7], v[72:73]
	;; [unrolled: 1-line block ×3, first 2 shown]
	ds_write_b128 v103, v[37:40] offset:22464
	ds_write_b128 v103, v[41:44] offset:15120
	v_mul_u32_u24_e32 v20, 0x32a0, v35
	v_lshlrev_b32_e32 v21, 4, v36
	v_fma_f64 v[37:38], v[16:17], -0.5, v[122:123]
	v_add_f64 v[35:36], v[132:133], -v[136:137]
	v_add_f64 v[39:40], v[134:135], -v[138:139]
	v_fma_f64 v[72:73], v[80:81], s[6:7], v[78:79]
	v_add_f64 v[16:17], v[14:15], v[136:137]
	v_add_f64 v[14:15], v[18:19], v[138:139]
	v_add3_u32 v20, 0, v20, v21
	ds_write_b128 v103, v[58:61] offset:19440
	ds_write_b128 v103, v[62:65] offset:23760
	ds_write_b128 v20, v[66:69]
	ds_write_b128 v20, v[70:73] offset:4320
	ds_write_b128 v20, v[74:77] offset:8640
	v_fma_f64 v[18:19], v[35:36], s[4:5], v[22:23]
	v_fma_f64 v[20:21], v[39:40], s[6:7], v[37:38]
	v_lshl_add_u32 v32, v34, 4, 0
	v_fma_f64 v[35:36], v[35:36], s[6:7], v[22:23]
	v_fma_f64 v[37:38], v[39:40], s[4:5], v[37:38]
	ds_write_b128 v32, v[14:17] offset:25920
	v_add_f64 v[14:15], v[140:141], v[12:13]
	v_add_f64 v[16:17], v[126:127], v[140:141]
	;; [unrolled: 1-line block ×3, first 2 shown]
	ds_write_b128 v32, v[18:21] offset:30240
	v_add_f64 v[18:19], v[124:125], v[4:5]
	v_add_f64 v[39:40], v[0:1], v[2:3]
	ds_write_b128 v32, v[35:38] offset:34560
	v_add_f64 v[42:43], v[10:11], -v[8:9]
	v_fma_f64 v[34:35], v[14:15], -0.5, v[126:127]
	v_add_f64 v[14:15], v[16:17], v[12:13]
	v_add_f64 v[16:17], v[10:11], v[8:9]
	v_fma_f64 v[20:21], v[22:23], -0.5, v[124:125]
	v_add_f64 v[22:23], v[140:141], -v[12:13]
	v_add_f64 v[12:13], v[18:19], v[6:7]
	v_add_f64 v[18:19], v[4:5], -v[6:7]
	v_fma_f64 v[36:37], v[39:40], -0.5, v[128:129]
	v_add_f64 v[38:39], v[130:131], v[10:11]
	v_add_f64 v[40:41], v[128:129], v[0:1]
	v_fma_f64 v[44:45], v[16:17], -0.5, v[130:131]
	v_add_f64 v[58:59], v[0:1], -v[2:3]
	v_fma_f64 v[4:5], v[22:23], s[4:5], v[20:21]
	v_fma_f64 v[16:17], v[22:23], s[6:7], v[20:21]
	;; [unrolled: 1-line block ×4, first 2 shown]
	v_add_f64 v[10:11], v[38:39], v[8:9]
	v_add_f64 v[8:9], v[40:41], v[2:3]
	v_fma_f64 v[0:1], v[42:43], s[4:5], v[36:37]
	v_fma_f64 v[2:3], v[58:59], s[6:7], v[44:45]
	;; [unrolled: 1-line block ×4, first 2 shown]
	v_lshl_add_u32 v24, v24, 4, 0
	ds_write_b128 v24, v[12:15] offset:25920
	ds_write_b128 v24, v[4:7] offset:30240
	;; [unrolled: 1-line block ×3, first 2 shown]
	v_lshl_add_u32 v4, v33, 4, 0
	s_movk_i32 s10, 0x3000
	ds_write_b128 v4, v[8:11] offset:25920
	ds_write_b128 v4, v[0:3] offset:30240
	;; [unrolled: 1-line block ×3, first 2 shown]
	v_add_co_u32_e32 v0, vcc, s10, v26
	v_addc_co_u32_e32 v1, vcc, 0, v27, vcc
	s_waitcnt lgkmcnt(0)
	s_barrier
	global_load_dwordx4 v[12:15], v[0:1], off offset:512
	s_movk_i32 s11, 0x3200
	v_add_co_u32_e32 v0, vcc, s11, v26
	v_addc_co_u32_e32 v1, vcc, 0, v27, vcc
	v_add_co_u32_e32 v4, vcc, s10, v28
	v_addc_co_u32_e32 v5, vcc, 0, v29, vcc
	;; [unrolled: 2-line block ×3, first 2 shown]
	v_add_co_u32_e32 v26, vcc, s11, v30
	global_load_dwordx4 v[0:3], v[0:1], off offset:16
	v_addc_co_u32_e32 v27, vcc, 0, v31, vcc
	global_load_dwordx4 v[4:7], v[4:5], off offset:512
	v_add_co_u32_e32 v28, vcc, s10, v30
	global_load_dwordx4 v[8:11], v[8:9], off offset:16
	v_addc_co_u32_e32 v29, vcc, 0, v31, vcc
	v_lshlrev_b32_e32 v24, 1, v100
	global_load_dwordx4 v[16:19], v[28:29], off offset:512
	global_load_dwordx4 v[20:23], v[26:27], off offset:16
	v_lshlrev_b64 v[26:27], 4, v[24:25]
	v_add_co_u32_e32 v24, vcc, s8, v26
	v_addc_co_u32_e32 v30, vcc, v57, v27, vcc
	ds_read_b128 v[26:29], v103 offset:12960
	v_add_co_u32_e32 v38, vcc, s10, v24
	v_addc_co_u32_e32 v39, vcc, 0, v30, vcc
	v_add_co_u32_e32 v40, vcc, s11, v24
	v_lshlrev_b32_e32 v24, 1, v99
	v_addc_co_u32_e32 v41, vcc, 0, v30, vcc
	global_load_dwordx4 v[30:33], v[38:39], off offset:512
	global_load_dwordx4 v[34:37], v[40:41], off offset:16
	v_lshlrev_b64 v[42:43], 4, v[24:25]
	ds_read_b128 v[38:41], v103
	v_add_co_u32_e32 v24, vcc, s8, v42
	v_addc_co_u32_e32 v42, vcc, v57, v43, vcc
	v_add_co_u32_e32 v64, vcc, s10, v24
	v_addc_co_u32_e32 v65, vcc, 0, v42, vcc
	v_add_co_u32_e32 v66, vcc, s11, v24
	v_lshlrev_b32_e32 v24, 1, v98
	v_addc_co_u32_e32 v67, vcc, 0, v42, vcc
	global_load_dwordx4 v[42:45], v[64:65], off offset:512
	global_load_dwordx4 v[58:61], v[66:67], off offset:16
	s_waitcnt vmcnt(9) lgkmcnt(1)
	v_mul_f64 v[62:63], v[28:29], v[14:15]
	v_mul_f64 v[14:15], v[26:27], v[14:15]
	v_fma_f64 v[86:87], v[26:27], v[12:13], v[62:63]
	v_lshlrev_b64 v[26:27], 4, v[24:25]
	ds_read_b128 v[62:65], v103 offset:25920
	ds_read_b128 v[66:69], v103 offset:14256
	v_add_co_u32_e32 v24, vcc, s8, v26
	v_addc_co_u32_e32 v74, vcc, v57, v27, vcc
	v_add_co_u32_e32 v82, vcc, s10, v24
	v_addc_co_u32_e32 v83, vcc, 0, v74, vcc
	v_add_co_u32_e32 v84, vcc, s11, v24
	v_lshlrev_b32_e32 v24, 1, v97
	v_lshlrev_b64 v[104:105], 4, v[24:25]
	v_addc_co_u32_e32 v85, vcc, 0, v74, vcc
	v_add_co_u32_e32 v24, vcc, s8, v104
	v_fma_f64 v[136:137], v[28:29], v[12:13], -v[14:15]
	ds_read_b128 v[12:15], v103 offset:24624
	ds_read_b128 v[26:29], v103 offset:15552
	;; [unrolled: 1-line block ×3, first 2 shown]
	global_load_dwordx4 v[74:77], v[82:83], off offset:512
	global_load_dwordx4 v[78:81], v[84:85], off offset:16
	v_addc_co_u32_e32 v93, vcc, v57, v105, vcc
	v_add_co_u32_e32 v112, vcc, s10, v24
	v_addc_co_u32_e32 v113, vcc, 0, v93, vcc
	v_add_co_u32_e32 v114, vcc, s11, v24
	v_lshlrev_b32_e32 v24, 1, v96
	ds_read_b128 v[82:85], v103 offset:28512
	v_addc_co_u32_e32 v115, vcc, 0, v93, vcc
	global_load_dwordx4 v[104:107], v[112:113], off offset:512
	global_load_dwordx4 v[108:111], v[114:115], off offset:16
	v_lshlrev_b64 v[112:113], 4, v[24:25]
	s_waitcnt vmcnt(12) lgkmcnt(5)
	v_mul_f64 v[138:139], v[64:65], v[2:3]
	v_add_co_u32_e32 v24, vcc, s8, v112
	v_addc_co_u32_e32 v93, vcc, v57, v113, vcc
	v_add_co_u32_e32 v112, vcc, s10, v24
	v_addc_co_u32_e32 v113, vcc, 0, v93, vcc
	;; [unrolled: 2-line block ×3, first 2 shown]
	v_lshlrev_b32_e32 v24, 1, v95
	global_load_dwordx4 v[112:115], v[112:113], off offset:512
	s_nop 0
	global_load_dwordx4 v[116:119], v[116:117], off offset:16
	v_lshlrev_b64 v[120:121], 4, v[24:25]
	v_mul_f64 v[2:3], v[62:63], v[2:3]
	v_add_co_u32_e32 v24, vcc, s8, v120
	v_addc_co_u32_e32 v93, vcc, v57, v121, vcc
	v_add_co_u32_e32 v120, vcc, s10, v24
	v_addc_co_u32_e32 v121, vcc, 0, v93, vcc
	;; [unrolled: 2-line block ×3, first 2 shown]
	global_load_dwordx4 v[120:123], v[120:121], off offset:512
	s_nop 0
	global_load_dwordx4 v[124:127], v[124:125], off offset:16
	v_lshlrev_b32_e32 v24, 1, v94
	v_lshlrev_b64 v[128:129], 4, v[24:25]
	s_waitcnt vmcnt(15) lgkmcnt(4)
	v_mul_f64 v[140:141], v[68:69], v[6:7]
	v_add_co_u32_e32 v24, vcc, s8, v128
	v_addc_co_u32_e32 v57, vcc, v57, v129, vcc
	v_add_co_u32_e32 v128, vcc, s10, v24
	v_addc_co_u32_e32 v129, vcc, 0, v57, vcc
	global_load_dwordx4 v[128:131], v[128:129], off offset:512
	v_add_co_u32_e32 v132, vcc, s11, v24
	v_addc_co_u32_e32 v133, vcc, 0, v57, vcc
	global_load_dwordx4 v[132:135], v[132:133], off offset:16
	v_mul_f64 v[6:7], v[66:67], v[6:7]
	s_waitcnt vmcnt(16) lgkmcnt(1)
	v_mul_f64 v[142:143], v[72:73], v[10:11]
	v_mul_f64 v[10:11], v[70:71], v[10:11]
	v_fma_f64 v[138:139], v[62:63], v[0:1], v[138:139]
	v_fma_f64 v[144:145], v[64:65], v[0:1], -v[2:3]
	v_fma_f64 v[66:67], v[66:67], v[4:5], v[140:141]
	ds_read_b128 v[0:3], v103 offset:16848
	s_waitcnt vmcnt(15)
	v_mul_f64 v[146:147], v[28:29], v[18:19]
	v_fma_f64 v[68:69], v[68:69], v[4:5], -v[6:7]
	v_fma_f64 v[70:71], v[70:71], v[8:9], v[142:143]
	v_fma_f64 v[72:73], v[72:73], v[8:9], -v[10:11]
	ds_read_b128 v[4:7], v103 offset:29808
	ds_read_b128 v[8:11], v103 offset:18144
	s_waitcnt vmcnt(14) lgkmcnt(3)
	v_mul_f64 v[140:141], v[84:85], v[22:23]
	s_waitcnt vmcnt(13) lgkmcnt(2)
	v_mul_f64 v[142:143], v[2:3], v[32:33]
	v_mul_f64 v[32:33], v[0:1], v[32:33]
	s_waitcnt vmcnt(12) lgkmcnt(1)
	v_mul_f64 v[148:149], v[6:7], v[36:37]
	v_mul_f64 v[22:23], v[82:83], v[22:23]
	;; [unrolled: 1-line block ×3, first 2 shown]
	v_fma_f64 v[146:147], v[26:27], v[16:17], v[146:147]
	v_mul_f64 v[26:27], v[4:5], v[36:37]
	ds_read_b128 v[62:65], v103 offset:31104
	v_fma_f64 v[82:83], v[82:83], v[20:21], v[140:141]
	v_fma_f64 v[140:141], v[0:1], v[30:31], v[142:143]
	;; [unrolled: 1-line block ×3, first 2 shown]
	s_waitcnt vmcnt(11) lgkmcnt(1)
	v_mul_f64 v[4:5], v[10:11], v[44:45]
	v_fma_f64 v[142:143], v[2:3], v[30:31], -v[32:33]
	ds_read_b128 v[0:3], v103 offset:19440
	v_fma_f64 v[84:85], v[84:85], v[20:21], -v[22:23]
	v_mul_f64 v[20:21], v[8:9], v[44:45]
	v_fma_f64 v[150:151], v[28:29], v[16:17], -v[18:19]
	ds_read_b128 v[16:19], v103 offset:20736
	s_waitcnt vmcnt(9) lgkmcnt(1)
	v_mul_f64 v[30:31], v[2:3], v[76:77]
	v_mul_f64 v[32:33], v[0:1], v[76:77]
	v_fma_f64 v[76:77], v[6:7], v[34:35], -v[26:27]
	v_fma_f64 v[152:153], v[8:9], v[42:43], v[4:5]
	ds_read_b128 v[4:7], v103 offset:32400
	v_mul_f64 v[22:23], v[64:65], v[60:61]
	v_mul_f64 v[28:29], v[62:63], v[60:61]
	v_fma_f64 v[154:155], v[10:11], v[42:43], -v[20:21]
	s_waitcnt vmcnt(7) lgkmcnt(1)
	v_mul_f64 v[42:43], v[18:19], v[106:107]
	v_fma_f64 v[160:161], v[0:1], v[74:75], v[30:31]
	v_fma_f64 v[74:75], v[2:3], v[74:75], -v[32:33]
	ds_read_b128 v[0:3], v54
	ds_read_b128 v[8:11], v103 offset:33696
	v_fma_f64 v[156:157], v[62:63], v[58:59], v[22:23]
	v_fma_f64 v[158:159], v[64:65], v[58:59], -v[28:29]
	ds_read_b128 v[20:23], v103 offset:22032
	ds_read_b128 v[26:29], v103 offset:34992
	s_waitcnt lgkmcnt(4)
	v_mul_f64 v[34:35], v[6:7], v[80:81]
	v_mul_f64 v[44:45], v[16:17], v[106:107]
	v_fma_f64 v[106:107], v[16:17], v[104:105], v[42:43]
	s_waitcnt vmcnt(5) lgkmcnt(1)
	v_mul_f64 v[61:62], v[22:23], v[114:115]
	v_mul_f64 v[16:17], v[20:21], v[114:115]
	v_mul_f64 v[36:37], v[4:5], v[80:81]
	ds_read_b128 v[30:33], v103 offset:23328
	v_mul_f64 v[57:58], v[10:11], v[110:111]
	v_mul_f64 v[59:60], v[8:9], v[110:111]
	v_fma_f64 v[80:81], v[4:5], v[78:79], v[34:35]
	v_fma_f64 v[104:105], v[18:19], v[104:105], -v[44:45]
	v_fma_f64 v[114:115], v[20:21], v[112:113], v[61:62]
	s_waitcnt vmcnt(4) lgkmcnt(1)
	v_mul_f64 v[18:19], v[28:29], v[118:119]
	v_fma_f64 v[112:113], v[22:23], v[112:113], -v[16:17]
	s_waitcnt vmcnt(3) lgkmcnt(0)
	v_mul_f64 v[34:35], v[32:33], v[122:123]
	v_mul_f64 v[16:17], v[30:31], v[122:123]
	v_fma_f64 v[78:79], v[6:7], v[78:79], -v[36:37]
	ds_read_b128 v[4:7], v103 offset:36288
	v_fma_f64 v[110:111], v[8:9], v[108:109], v[57:58]
	v_fma_f64 v[108:109], v[10:11], v[108:109], -v[59:60]
	ds_read_b128 v[8:11], v103 offset:37584
	v_mul_f64 v[20:21], v[26:27], v[118:119]
	s_waitcnt vmcnt(2) lgkmcnt(1)
	v_mul_f64 v[22:23], v[6:7], v[126:127]
	v_mul_f64 v[36:37], v[4:5], v[126:127]
	v_fma_f64 v[118:119], v[26:27], v[116:117], v[18:19]
	v_fma_f64 v[122:123], v[30:31], v[120:121], v[34:35]
	v_fma_f64 v[120:121], v[32:33], v[120:121], -v[16:17]
	s_waitcnt vmcnt(1)
	v_mul_f64 v[18:19], v[14:15], v[130:131]
	v_mul_f64 v[16:17], v[12:13], v[130:131]
	v_fma_f64 v[116:117], v[28:29], v[116:117], -v[20:21]
	v_fma_f64 v[126:127], v[4:5], v[124:125], v[22:23]
	v_fma_f64 v[124:125], v[6:7], v[124:125], -v[36:37]
	s_waitcnt vmcnt(0) lgkmcnt(0)
	v_mul_f64 v[4:5], v[10:11], v[134:135]
	v_mul_f64 v[6:7], v[8:9], v[134:135]
	v_add_f64 v[20:21], v[86:87], v[138:139]
	v_fma_f64 v[130:131], v[12:13], v[128:129], v[18:19]
	v_fma_f64 v[128:129], v[14:15], v[128:129], -v[16:17]
	v_add_f64 v[14:15], v[40:41], v[136:137]
	v_add_f64 v[12:13], v[136:137], v[144:145]
	;; [unrolled: 1-line block ×3, first 2 shown]
	v_fma_f64 v[134:135], v[8:9], v[132:133], v[4:5]
	v_fma_f64 v[132:133], v[10:11], v[132:133], -v[6:7]
	v_add_f64 v[28:29], v[66:67], v[70:71]
	ds_read_b128 v[8:11], v56
	v_fma_f64 v[20:21], v[20:21], -0.5, v[38:39]
	v_add_f64 v[6:7], v[14:15], v[144:145]
	v_add_f64 v[14:15], v[68:69], v[72:73]
	v_add_f64 v[22:23], v[136:137], -v[144:145]
	v_fma_f64 v[26:27], v[12:13], -0.5, v[40:41]
	v_add_f64 v[4:5], v[16:17], v[138:139]
	ds_read_b128 v[16:19], v55
	v_add_f64 v[30:31], v[86:87], -v[138:139]
	s_waitcnt lgkmcnt(1)
	v_fma_f64 v[28:29], v[28:29], -0.5, v[8:9]
	v_add_f64 v[32:33], v[10:11], v[68:69]
	v_add_f64 v[34:35], v[8:9], v[66:67]
	v_add_f64 v[36:37], v[68:69], -v[72:73]
	v_fma_f64 v[38:39], v[14:15], -0.5, v[10:11]
	v_add_f64 v[40:41], v[66:67], -v[70:71]
	v_fma_f64 v[12:13], v[22:23], s[4:5], v[20:21]
	v_fma_f64 v[8:9], v[22:23], s[6:7], v[20:21]
	;; [unrolled: 1-line block ×4, first 2 shown]
	v_add_f64 v[22:23], v[32:33], v[72:73]
	v_add_f64 v[20:21], v[34:35], v[70:71]
	v_fma_f64 v[26:27], v[36:37], s[4:5], v[28:29]
	v_fma_f64 v[30:31], v[36:37], s[6:7], v[28:29]
	;; [unrolled: 1-line block ×4, first 2 shown]
	ds_read_b128 v[34:37], v53
	ds_read_b128 v[38:41], v52
	;; [unrolled: 1-line block ×6, first 2 shown]
	v_add_f64 v[69:70], v[146:147], v[82:83]
	s_waitcnt lgkmcnt(0)
	s_barrier
	ds_write_b128 v103, v[4:7]
	v_add_f64 v[4:5], v[150:151], v[84:85]
	ds_write_b128 v103, v[12:15] offset:12960
	ds_write_b128 v103, v[8:11] offset:25920
	v_add_f64 v[6:7], v[18:19], v[150:151]
	v_fma_f64 v[10:11], v[69:70], -0.5, v[16:17]
	v_add_f64 v[8:9], v[16:17], v[146:147]
	v_add_f64 v[12:13], v[150:151], -v[84:85]
	v_add_f64 v[16:17], v[146:147], -v[82:83]
	ds_write_b128 v56, v[20:23]
	v_fma_f64 v[14:15], v[4:5], -0.5, v[18:19]
	v_add_f64 v[18:19], v[140:141], v[148:149]
	v_add_f64 v[6:7], v[6:7], v[84:85]
	ds_write_b128 v56, v[26:29] offset:12960
	ds_write_b128 v56, v[30:33] offset:25920
	v_add_f64 v[4:5], v[8:9], v[82:83]
	v_fma_f64 v[8:9], v[12:13], s[4:5], v[10:11]
	v_fma_f64 v[12:13], v[12:13], s[6:7], v[10:11]
	v_add_f64 v[20:21], v[2:3], v[142:143]
	v_fma_f64 v[10:11], v[16:17], s[6:7], v[14:15]
	v_fma_f64 v[14:15], v[16:17], s[4:5], v[14:15]
	v_add_f64 v[16:17], v[142:143], v[76:77]
	v_add_f64 v[26:27], v[154:155], -v[158:159]
	ds_write_b128 v55, v[4:7]
	v_add_f64 v[4:5], v[0:1], v[140:141]
	v_fma_f64 v[6:7], v[18:19], -0.5, v[0:1]
	v_add_f64 v[18:19], v[142:143], -v[76:77]
	ds_write_b128 v55, v[8:11] offset:12960
	ds_write_b128 v55, v[12:15] offset:25920
	v_add_f64 v[12:13], v[152:153], v[156:157]
	v_fma_f64 v[10:11], v[16:17], -0.5, v[2:3]
	v_add_f64 v[16:17], v[154:155], v[158:159]
	v_add_f64 v[2:3], v[20:21], v[76:77]
	v_add_f64 v[0:1], v[4:5], v[148:149]
	v_add_f64 v[14:15], v[140:141], -v[148:149]
	v_fma_f64 v[4:5], v[18:19], s[4:5], v[6:7]
	v_add_f64 v[20:21], v[36:37], v[154:155]
	v_fma_f64 v[8:9], v[18:19], s[6:7], v[6:7]
	v_add_f64 v[18:19], v[34:35], v[152:153]
	v_fma_f64 v[22:23], v[12:13], -0.5, v[34:35]
	v_fma_f64 v[28:29], v[16:17], -0.5, v[36:37]
	v_add_f64 v[30:31], v[160:161], v[80:81]
	v_add_f64 v[32:33], v[152:153], -v[156:157]
	v_fma_f64 v[6:7], v[14:15], s[6:7], v[10:11]
	v_fma_f64 v[10:11], v[14:15], s[4:5], v[10:11]
	v_add_f64 v[14:15], v[20:21], v[158:159]
	v_add_f64 v[12:13], v[18:19], v[156:157]
	v_fma_f64 v[16:17], v[26:27], s[4:5], v[22:23]
	v_add_f64 v[34:35], v[74:75], v[78:79]
	v_add_f64 v[36:37], v[40:41], v[74:75]
	v_fma_f64 v[20:21], v[26:27], s[6:7], v[22:23]
	v_add_f64 v[26:27], v[38:39], v[160:161]
	v_fma_f64 v[38:39], v[30:31], -0.5, v[38:39]
	v_add_f64 v[55:56], v[74:75], -v[78:79]
	v_fma_f64 v[18:19], v[32:33], s[6:7], v[28:29]
	v_fma_f64 v[22:23], v[32:33], s[4:5], v[28:29]
	v_add_f64 v[32:33], v[106:107], v[110:111]
	v_add_f64 v[69:70], v[104:105], v[108:109]
	v_fma_f64 v[40:41], v[34:35], -0.5, v[40:41]
	v_add_f64 v[28:29], v[36:37], v[78:79]
	v_add_f64 v[36:37], v[160:161], -v[80:81]
	v_fma_f64 v[30:31], v[55:56], s[4:5], v[38:39]
	v_fma_f64 v[34:35], v[55:56], s[6:7], v[38:39]
	v_add_f64 v[38:39], v[44:45], v[104:105]
	v_add_f64 v[55:56], v[42:43], v[106:107]
	v_fma_f64 v[71:72], v[32:33], -0.5, v[42:43]
	v_add_f64 v[73:74], v[104:105], -v[108:109]
	v_fma_f64 v[69:70], v[69:70], -0.5, v[44:45]
	v_add_f64 v[44:45], v[114:115], v[118:119]
	v_add_f64 v[26:27], v[26:27], v[80:81]
	v_fma_f64 v[32:33], v[36:37], s[6:7], v[40:41]
	v_fma_f64 v[36:37], v[36:37], s[4:5], v[40:41]
	v_add_f64 v[40:41], v[38:39], v[108:109]
	v_add_f64 v[38:39], v[55:56], v[110:111]
	v_add_f64 v[75:76], v[106:107], -v[110:111]
	v_fma_f64 v[42:43], v[73:74], s[4:5], v[71:72]
	v_add_f64 v[77:78], v[112:113], v[116:117]
	v_fma_f64 v[55:56], v[73:74], s[6:7], v[71:72]
	v_fma_f64 v[79:80], v[44:45], -0.5, v[57:58]
	v_add_f64 v[73:74], v[57:58], v[114:115]
	v_add_f64 v[81:82], v[112:113], -v[116:117]
	v_add_f64 v[71:72], v[59:60], v[112:113]
	v_fma_f64 v[44:45], v[75:76], s[6:7], v[69:70]
	v_fma_f64 v[57:58], v[75:76], s[4:5], v[69:70]
	v_fma_f64 v[77:78], v[77:78], -0.5, v[59:60]
	v_add_f64 v[83:84], v[114:115], -v[118:119]
	v_add_f64 v[85:86], v[122:123], v[126:127]
	v_add_f64 v[69:70], v[73:74], v[118:119]
	v_fma_f64 v[73:74], v[81:82], s[4:5], v[79:80]
	v_fma_f64 v[59:60], v[81:82], s[6:7], v[79:80]
	v_add_f64 v[79:80], v[120:121], v[124:125]
	v_add_f64 v[81:82], v[63:64], v[120:121]
	;; [unrolled: 1-line block ×3, first 2 shown]
	v_fma_f64 v[75:76], v[83:84], s[6:7], v[77:78]
	v_fma_f64 v[85:86], v[85:86], -0.5, v[61:62]
	v_add_f64 v[108:109], v[130:131], v[134:135]
	v_fma_f64 v[61:62], v[83:84], s[4:5], v[77:78]
	v_add_f64 v[71:72], v[71:72], v[116:117]
	v_fma_f64 v[83:84], v[79:80], -0.5, v[63:64]
	v_add_f64 v[79:80], v[81:82], v[124:125]
	v_add_f64 v[81:82], v[128:129], v[132:133]
	v_add_f64 v[106:107], v[120:121], -v[124:125]
	v_add_f64 v[77:78], v[104:105], v[126:127]
	v_add_f64 v[104:105], v[122:123], -v[126:127]
	v_fma_f64 v[110:111], v[108:109], -0.5, v[65:66]
	v_add_f64 v[108:109], v[67:68], v[128:129]
	v_add_f64 v[112:113], v[65:66], v[130:131]
	v_add_f64 v[114:115], v[128:129], -v[132:133]
	v_fma_f64 v[67:68], v[81:82], -0.5, v[67:68]
	v_add_f64 v[116:117], v[130:131], -v[134:135]
	v_fma_f64 v[63:64], v[106:107], s[4:5], v[85:86]
	v_fma_f64 v[81:82], v[106:107], s[6:7], v[85:86]
	;; [unrolled: 1-line block ×4, first 2 shown]
	v_add_f64 v[106:107], v[108:109], v[132:133]
	v_add_f64 v[104:105], v[112:113], v[134:135]
	v_fma_f64 v[108:109], v[114:115], s[4:5], v[110:111]
	v_fma_f64 v[112:113], v[114:115], s[6:7], v[110:111]
	;; [unrolled: 1-line block ×4, first 2 shown]
	ds_write_b128 v54, v[0:3]
	ds_write_b128 v54, v[4:7] offset:12960
	ds_write_b128 v54, v[8:11] offset:25920
	ds_write_b128 v53, v[12:15]
	ds_write_b128 v53, v[16:19] offset:12960
	ds_write_b128 v53, v[20:23] offset:25920
	;; [unrolled: 3-line block ×7, first 2 shown]
	s_waitcnt lgkmcnt(0)
	s_barrier
	ds_read_b128 v[4:7], v103
	s_add_u32 s6, s8, 0x9740
	s_addc_u32 s7, s9, 0
	v_sub_u32_e32 v10, 0, v89
	v_cmp_ne_u32_e32 vcc, 0, v88
                                        ; implicit-def: $vgpr8_vgpr9
                                        ; implicit-def: $vgpr2_vgpr3
	s_and_saveexec_b64 s[4:5], vcc
	s_xor_b64 s[4:5], exec, s[4:5]
	s_cbranch_execz .LBB0_15
; %bb.14:
	v_mov_b32_e32 v89, v25
	v_lshlrev_b64 v[0:1], 4, v[88:89]
	v_mov_b32_e32 v2, s7
	v_add_co_u32_e32 v0, vcc, s6, v0
	v_addc_co_u32_e32 v1, vcc, v2, v1, vcc
	global_load_dwordx4 v[11:14], v[0:1], off
	ds_read_b128 v[0:3], v10 offset:38880
	s_waitcnt lgkmcnt(0)
	v_add_f64 v[8:9], v[4:5], -v[0:1]
	v_add_f64 v[15:16], v[6:7], v[2:3]
	v_add_f64 v[2:3], v[6:7], -v[2:3]
	v_add_f64 v[0:1], v[4:5], v[0:1]
	v_mul_f64 v[6:7], v[8:9], 0.5
	v_mul_f64 v[4:5], v[15:16], 0.5
	;; [unrolled: 1-line block ×3, first 2 shown]
	s_waitcnt vmcnt(0)
	v_mul_f64 v[8:9], v[6:7], v[13:14]
	v_fma_f64 v[15:16], v[4:5], v[13:14], v[2:3]
	v_fma_f64 v[2:3], v[4:5], v[13:14], -v[2:3]
	v_fma_f64 v[17:18], v[0:1], 0.5, v[8:9]
	v_fma_f64 v[0:1], v[0:1], 0.5, -v[8:9]
	v_fma_f64 v[8:9], -v[11:12], v[6:7], v[15:16]
	v_fma_f64 v[2:3], -v[11:12], v[6:7], v[2:3]
	v_fma_f64 v[13:14], v[4:5], v[11:12], v[17:18]
	v_fma_f64 v[0:1], -v[4:5], v[11:12], v[0:1]
                                        ; implicit-def: $vgpr4_vgpr5
	ds_write_b64 v103, v[13:14]
.LBB0_15:
	s_or_saveexec_b64 s[4:5], s[4:5]
	v_mul_i32_i24_e32 v12, 0xffffff70, v92
	v_mul_i32_i24_e32 v11, 0xffffff70, v101
	s_xor_b64 exec, exec, s[4:5]
	s_cbranch_execz .LBB0_17
; %bb.16:
	s_waitcnt lgkmcnt(0)
	v_add_f64 v[2:3], v[4:5], v[6:7]
	v_mov_b32_e32 v15, 0
	ds_read_b64 v[13:14], v15 offset:19448
	v_add_f64 v[0:1], v[4:5], -v[6:7]
	v_mov_b32_e32 v8, 0
	v_mov_b32_e32 v9, 0
	s_waitcnt lgkmcnt(0)
	v_xor_b32_e32 v14, 0x80000000, v14
	ds_write_b64 v15, v[13:14] offset:19448
	ds_write_b64 v103, v[2:3]
	v_mov_b32_e32 v2, v8
	v_mov_b32_e32 v3, v9
.LBB0_17:
	s_or_b64 exec, exec, s[4:5]
	v_mov_b32_e32 v93, 0
	s_waitcnt lgkmcnt(0)
	v_lshlrev_b64 v[4:5], 4, v[92:93]
	v_mov_b32_e32 v6, s7
	v_add_co_u32_e32 v4, vcc, s6, v4
	v_addc_co_u32_e32 v5, vcc, v6, v5, vcc
	global_load_dwordx4 v[4:7], v[4:5], off
	v_mov_b32_e32 v102, v93
	v_lshlrev_b64 v[13:14], 4, v[101:102]
	v_mov_b32_e32 v15, s7
	v_add_co_u32_e32 v13, vcc, s6, v13
	v_addc_co_u32_e32 v14, vcc, v15, v14, vcc
	global_load_dwordx4 v[13:16], v[13:14], off
	ds_write_b64 v103, v[8:9] offset:8
	ds_write_b128 v10, v[0:3] offset:38880
	v_add_u32_e32 v12, v47, v12
	ds_read_b128 v[0:3], v12
	ds_read_b128 v[17:20], v10 offset:37584
	v_mov_b32_e32 v101, v93
	v_mov_b32_e32 v29, s7
	v_add_u32_e32 v92, 0x32a, v88
	s_waitcnt lgkmcnt(0)
	v_add_f64 v[8:9], v[0:1], -v[17:18]
	v_add_f64 v[21:22], v[2:3], v[19:20]
	v_add_f64 v[2:3], v[2:3], -v[19:20]
	v_add_f64 v[0:1], v[0:1], v[17:18]
	v_lshlrev_b64 v[17:18], 4, v[100:101]
	v_mov_b32_e32 v100, v93
	v_mul_f64 v[19:20], v[8:9], 0.5
	v_mul_f64 v[21:22], v[21:22], 0.5
	;; [unrolled: 1-line block ×3, first 2 shown]
	s_waitcnt vmcnt(1)
	v_mul_f64 v[8:9], v[19:20], v[6:7]
	v_fma_f64 v[23:24], v[21:22], v[6:7], v[2:3]
	v_fma_f64 v[6:7], v[21:22], v[6:7], -v[2:3]
	v_fma_f64 v[25:26], v[0:1], 0.5, v[8:9]
	v_fma_f64 v[27:28], v[0:1], 0.5, -v[8:9]
	v_add_co_u32_e32 v0, vcc, s6, v17
	v_addc_co_u32_e32 v1, vcc, v29, v18, vcc
	global_load_dwordx4 v[0:3], v[0:1], off
	v_fma_f64 v[8:9], -v[4:5], v[19:20], v[23:24]
	v_fma_f64 v[19:20], -v[4:5], v[19:20], v[6:7]
	v_fma_f64 v[6:7], v[21:22], v[4:5], v[25:26]
	v_fma_f64 v[17:18], -v[21:22], v[4:5], v[27:28]
	v_add_u32_e32 v27, v46, v11
	v_mov_b32_e32 v28, s7
	ds_write_b128 v12, v[6:9]
	ds_write_b128 v10, v[17:20] offset:37584
	ds_read_b128 v[4:7], v27
	ds_read_b128 v[17:20], v10 offset:36288
	s_waitcnt lgkmcnt(0)
	v_add_f64 v[8:9], v[4:5], -v[17:18]
	v_add_f64 v[11:12], v[6:7], v[19:20]
	v_add_f64 v[6:7], v[6:7], -v[19:20]
	v_add_f64 v[4:5], v[4:5], v[17:18]
	v_lshlrev_b64 v[19:20], 4, v[99:100]
	v_mov_b32_e32 v99, v93
	v_mul_f64 v[8:9], v[8:9], 0.5
	v_mul_f64 v[11:12], v[11:12], 0.5
	;; [unrolled: 1-line block ×3, first 2 shown]
	s_waitcnt vmcnt(1)
	v_mul_f64 v[17:18], v[8:9], v[15:16]
	v_fma_f64 v[21:22], v[11:12], v[15:16], v[6:7]
	v_fma_f64 v[15:16], v[11:12], v[15:16], -v[6:7]
	v_fma_f64 v[23:24], v[4:5], 0.5, v[17:18]
	v_fma_f64 v[25:26], v[4:5], 0.5, -v[17:18]
	v_add_co_u32_e32 v4, vcc, s6, v19
	v_addc_co_u32_e32 v5, vcc, v28, v20, vcc
	global_load_dwordx4 v[4:7], v[4:5], off
	v_fma_f64 v[17:18], -v[13:14], v[8:9], v[21:22]
	v_fma_f64 v[21:22], -v[13:14], v[8:9], v[15:16]
	v_fma_f64 v[15:16], v[11:12], v[13:14], v[23:24]
	v_fma_f64 v[19:20], -v[11:12], v[13:14], v[25:26]
	ds_write_b128 v27, v[15:18]
	ds_write_b128 v10, v[19:22] offset:36288
	ds_read_b128 v[11:14], v54
	ds_read_b128 v[15:18], v10 offset:34992
	v_mov_b32_e32 v27, s7
	s_waitcnt lgkmcnt(0)
	v_add_f64 v[8:9], v[11:12], -v[15:16]
	v_add_f64 v[19:20], v[13:14], v[17:18]
	v_add_f64 v[13:14], v[13:14], -v[17:18]
	v_add_f64 v[11:12], v[11:12], v[15:16]
	v_lshlrev_b64 v[17:18], 4, v[98:99]
	v_mov_b32_e32 v98, v93
	v_mul_f64 v[8:9], v[8:9], 0.5
	v_mul_f64 v[19:20], v[19:20], 0.5
	;; [unrolled: 1-line block ×3, first 2 shown]
	s_waitcnt vmcnt(1)
	v_mul_f64 v[15:16], v[8:9], v[2:3]
	v_fma_f64 v[21:22], v[19:20], v[2:3], v[13:14]
	v_fma_f64 v[2:3], v[19:20], v[2:3], -v[13:14]
	v_fma_f64 v[23:24], v[11:12], 0.5, v[15:16]
	v_fma_f64 v[25:26], v[11:12], 0.5, -v[15:16]
	v_add_co_u32_e32 v11, vcc, s6, v17
	v_addc_co_u32_e32 v12, vcc, v27, v18, vcc
	global_load_dwordx4 v[11:14], v[11:12], off
	v_fma_f64 v[17:18], -v[0:1], v[8:9], v[21:22]
	v_fma_f64 v[15:16], v[19:20], v[0:1], v[23:24]
	v_fma_f64 v[2:3], -v[0:1], v[8:9], v[2:3]
	v_fma_f64 v[0:1], -v[19:20], v[0:1], v[25:26]
	ds_write_b128 v54, v[15:18]
	ds_write_b128 v10, v[0:3] offset:34992
	ds_read_b128 v[0:3], v53
	ds_read_b128 v[15:18], v10 offset:33696
	s_waitcnt lgkmcnt(0)
	v_add_f64 v[8:9], v[0:1], -v[15:16]
	v_add_f64 v[19:20], v[2:3], v[17:18]
	v_add_f64 v[2:3], v[2:3], -v[17:18]
	v_add_f64 v[0:1], v[0:1], v[15:16]
	v_lshlrev_b64 v[15:16], 4, v[97:98]
	v_mov_b32_e32 v97, v93
	v_mul_f64 v[17:18], v[8:9], 0.5
	v_mul_f64 v[19:20], v[19:20], 0.5
	;; [unrolled: 1-line block ×3, first 2 shown]
	s_waitcnt vmcnt(1)
	v_mul_f64 v[8:9], v[17:18], v[6:7]
	v_fma_f64 v[21:22], v[19:20], v[6:7], v[2:3]
	v_fma_f64 v[6:7], v[19:20], v[6:7], -v[2:3]
	v_fma_f64 v[23:24], v[0:1], 0.5, v[8:9]
	v_fma_f64 v[25:26], v[0:1], 0.5, -v[8:9]
	v_add_co_u32_e32 v0, vcc, s6, v15
	v_addc_co_u32_e32 v1, vcc, v27, v16, vcc
	global_load_dwordx4 v[0:3], v[0:1], off
	v_fma_f64 v[8:9], -v[4:5], v[17:18], v[21:22]
	v_fma_f64 v[17:18], -v[4:5], v[17:18], v[6:7]
	v_fma_f64 v[6:7], v[19:20], v[4:5], v[23:24]
	v_fma_f64 v[15:16], -v[19:20], v[4:5], v[25:26]
	ds_write_b128 v53, v[6:9]
	ds_write_b128 v10, v[15:18] offset:33696
	ds_read_b128 v[4:7], v52
	ds_read_b128 v[15:18], v10 offset:32400
	s_waitcnt lgkmcnt(0)
	v_add_f64 v[8:9], v[4:5], -v[15:16]
	v_add_f64 v[19:20], v[6:7], v[17:18]
	v_add_f64 v[6:7], v[6:7], -v[17:18]
	v_add_f64 v[4:5], v[4:5], v[15:16]
	v_mul_f64 v[8:9], v[8:9], 0.5
	v_mul_f64 v[17:18], v[19:20], 0.5
	;; [unrolled: 1-line block ×3, first 2 shown]
	v_lshlrev_b64 v[19:20], 4, v[96:97]
	v_mov_b32_e32 v96, v93
	s_waitcnt vmcnt(1)
	v_mul_f64 v[15:16], v[8:9], v[13:14]
	v_fma_f64 v[21:22], v[17:18], v[13:14], v[6:7]
	v_fma_f64 v[13:14], v[17:18], v[13:14], -v[6:7]
	v_fma_f64 v[23:24], v[4:5], 0.5, v[15:16]
	v_fma_f64 v[25:26], v[4:5], 0.5, -v[15:16]
	v_add_co_u32_e32 v4, vcc, s6, v19
	v_addc_co_u32_e32 v5, vcc, v27, v20, vcc
	global_load_dwordx4 v[4:7], v[4:5], off
	v_fma_f64 v[15:16], -v[11:12], v[8:9], v[21:22]
	v_fma_f64 v[19:20], -v[11:12], v[8:9], v[13:14]
	v_fma_f64 v[13:14], v[17:18], v[11:12], v[23:24]
	v_fma_f64 v[17:18], -v[17:18], v[11:12], v[25:26]
	ds_write_b128 v52, v[13:16]
	ds_write_b128 v10, v[17:20] offset:32400
	ds_read_b128 v[11:14], v51
	ds_read_b128 v[15:18], v10 offset:31104
	s_waitcnt lgkmcnt(0)
	v_add_f64 v[8:9], v[11:12], -v[15:16]
	v_add_f64 v[19:20], v[13:14], v[17:18]
	v_add_f64 v[13:14], v[13:14], -v[17:18]
	v_add_f64 v[11:12], v[11:12], v[15:16]
	v_lshlrev_b64 v[17:18], 4, v[95:96]
	v_mov_b32_e32 v95, v93
	v_mul_f64 v[8:9], v[8:9], 0.5
	v_mul_f64 v[19:20], v[19:20], 0.5
	;; [unrolled: 1-line block ×3, first 2 shown]
	s_waitcnt vmcnt(1)
	v_mul_f64 v[15:16], v[8:9], v[2:3]
	v_fma_f64 v[21:22], v[19:20], v[2:3], v[13:14]
	v_fma_f64 v[2:3], v[19:20], v[2:3], -v[13:14]
	v_fma_f64 v[23:24], v[11:12], 0.5, v[15:16]
	v_fma_f64 v[25:26], v[11:12], 0.5, -v[15:16]
	v_add_co_u32_e32 v11, vcc, s6, v17
	v_addc_co_u32_e32 v12, vcc, v27, v18, vcc
	global_load_dwordx4 v[11:14], v[11:12], off
	v_fma_f64 v[17:18], -v[0:1], v[8:9], v[21:22]
	v_fma_f64 v[15:16], v[19:20], v[0:1], v[23:24]
	v_fma_f64 v[2:3], -v[0:1], v[8:9], v[2:3]
	v_fma_f64 v[0:1], -v[19:20], v[0:1], v[25:26]
	ds_write_b128 v51, v[15:18]
	ds_write_b128 v10, v[0:3] offset:31104
	ds_read_b128 v[0:3], v50
	ds_read_b128 v[15:18], v10 offset:29808
	s_waitcnt lgkmcnt(0)
	v_add_f64 v[8:9], v[0:1], -v[15:16]
	v_add_f64 v[19:20], v[2:3], v[17:18]
	v_add_f64 v[2:3], v[2:3], -v[17:18]
	v_add_f64 v[0:1], v[0:1], v[15:16]
	v_lshlrev_b64 v[15:16], 4, v[94:95]
	v_mul_f64 v[17:18], v[8:9], 0.5
	v_mul_f64 v[19:20], v[19:20], 0.5
	;; [unrolled: 1-line block ×3, first 2 shown]
	s_waitcnt vmcnt(1)
	v_mul_f64 v[8:9], v[17:18], v[6:7]
	v_fma_f64 v[21:22], v[19:20], v[6:7], v[2:3]
	v_fma_f64 v[6:7], v[19:20], v[6:7], -v[2:3]
	v_fma_f64 v[23:24], v[0:1], 0.5, v[8:9]
	v_fma_f64 v[25:26], v[0:1], 0.5, -v[8:9]
	v_add_co_u32_e32 v0, vcc, s6, v15
	v_addc_co_u32_e32 v1, vcc, v27, v16, vcc
	global_load_dwordx4 v[0:3], v[0:1], off
	v_fma_f64 v[8:9], -v[4:5], v[17:18], v[21:22]
	v_fma_f64 v[17:18], -v[4:5], v[17:18], v[6:7]
	v_fma_f64 v[6:7], v[19:20], v[4:5], v[23:24]
	v_fma_f64 v[15:16], -v[19:20], v[4:5], v[25:26]
	ds_write_b128 v50, v[6:9]
	ds_write_b128 v10, v[15:18] offset:29808
	ds_read_b128 v[4:7], v49
	ds_read_b128 v[15:18], v10 offset:28512
	s_waitcnt lgkmcnt(0)
	v_add_f64 v[8:9], v[4:5], -v[15:16]
	v_add_f64 v[19:20], v[6:7], v[17:18]
	v_add_f64 v[6:7], v[6:7], -v[17:18]
	v_add_f64 v[4:5], v[4:5], v[15:16]
	v_mul_f64 v[8:9], v[8:9], 0.5
	v_mul_f64 v[17:18], v[19:20], 0.5
	;; [unrolled: 1-line block ×3, first 2 shown]
	v_lshlrev_b64 v[19:20], 4, v[92:93]
	v_add_u32_e32 v92, 0x37b, v88
	s_waitcnt vmcnt(1)
	v_mul_f64 v[15:16], v[8:9], v[13:14]
	v_fma_f64 v[21:22], v[17:18], v[13:14], v[6:7]
	v_fma_f64 v[13:14], v[17:18], v[13:14], -v[6:7]
	v_fma_f64 v[23:24], v[4:5], 0.5, v[15:16]
	v_fma_f64 v[25:26], v[4:5], 0.5, -v[15:16]
	v_add_co_u32_e32 v4, vcc, s6, v19
	v_addc_co_u32_e32 v5, vcc, v27, v20, vcc
	global_load_dwordx4 v[4:7], v[4:5], off
	v_fma_f64 v[15:16], -v[11:12], v[8:9], v[21:22]
	v_fma_f64 v[19:20], -v[11:12], v[8:9], v[13:14]
	v_fma_f64 v[13:14], v[17:18], v[11:12], v[23:24]
	v_fma_f64 v[17:18], -v[17:18], v[11:12], v[25:26]
	ds_write_b128 v49, v[13:16]
	ds_write_b128 v10, v[17:20] offset:28512
	ds_read_b128 v[11:14], v48
	ds_read_b128 v[15:18], v10 offset:27216
	s_waitcnt lgkmcnt(0)
	v_add_f64 v[8:9], v[11:12], -v[15:16]
	v_add_f64 v[19:20], v[13:14], v[17:18]
	v_add_f64 v[13:14], v[13:14], -v[17:18]
	v_add_f64 v[11:12], v[11:12], v[15:16]
	v_lshlrev_b64 v[17:18], 4, v[92:93]
	v_add_u32_e32 v92, 0x3cc, v88
	v_mul_f64 v[8:9], v[8:9], 0.5
	v_mul_f64 v[19:20], v[19:20], 0.5
	;; [unrolled: 1-line block ×3, first 2 shown]
	s_waitcnt vmcnt(1)
	v_mul_f64 v[15:16], v[8:9], v[2:3]
	v_fma_f64 v[21:22], v[19:20], v[2:3], v[13:14]
	v_fma_f64 v[2:3], v[19:20], v[2:3], -v[13:14]
	v_fma_f64 v[23:24], v[11:12], 0.5, v[15:16]
	v_fma_f64 v[25:26], v[11:12], 0.5, -v[15:16]
	v_add_co_u32_e32 v11, vcc, s6, v17
	v_addc_co_u32_e32 v12, vcc, v27, v18, vcc
	global_load_dwordx4 v[11:14], v[11:12], off
	v_fma_f64 v[17:18], -v[0:1], v[8:9], v[21:22]
	v_fma_f64 v[15:16], v[19:20], v[0:1], v[23:24]
	v_fma_f64 v[2:3], -v[0:1], v[8:9], v[2:3]
	v_fma_f64 v[0:1], -v[19:20], v[0:1], v[25:26]
	ds_write_b128 v48, v[15:18]
	ds_write_b128 v10, v[0:3] offset:27216
	ds_read_b128 v[0:3], v103 offset:12960
	ds_read_b128 v[15:18], v10 offset:25920
	s_waitcnt lgkmcnt(0)
	v_add_f64 v[8:9], v[0:1], -v[15:16]
	v_add_f64 v[19:20], v[2:3], v[17:18]
	v_add_f64 v[2:3], v[2:3], -v[17:18]
	v_add_f64 v[0:1], v[0:1], v[15:16]
	v_lshlrev_b64 v[15:16], 4, v[92:93]
	v_add_u32_e32 v92, 0x41d, v88
	v_mul_f64 v[17:18], v[8:9], 0.5
	v_mul_f64 v[19:20], v[19:20], 0.5
	;; [unrolled: 1-line block ×3, first 2 shown]
	s_waitcnt vmcnt(1)
	v_mul_f64 v[8:9], v[17:18], v[6:7]
	v_fma_f64 v[21:22], v[19:20], v[6:7], v[2:3]
	v_fma_f64 v[6:7], v[19:20], v[6:7], -v[2:3]
	v_fma_f64 v[23:24], v[0:1], 0.5, v[8:9]
	v_fma_f64 v[25:26], v[0:1], 0.5, -v[8:9]
	v_add_co_u32_e32 v0, vcc, s6, v15
	v_addc_co_u32_e32 v1, vcc, v27, v16, vcc
	global_load_dwordx4 v[0:3], v[0:1], off
	v_fma_f64 v[8:9], -v[4:5], v[17:18], v[21:22]
	v_fma_f64 v[17:18], -v[4:5], v[17:18], v[6:7]
	v_fma_f64 v[6:7], v[19:20], v[4:5], v[23:24]
	v_fma_f64 v[15:16], -v[19:20], v[4:5], v[25:26]
	ds_write_b128 v103, v[6:9] offset:12960
	ds_write_b128 v10, v[15:18] offset:25920
	ds_read_b128 v[4:7], v103 offset:14256
	ds_read_b128 v[15:18], v10 offset:24624
	s_waitcnt lgkmcnt(0)
	v_add_f64 v[8:9], v[4:5], -v[15:16]
	v_add_f64 v[19:20], v[6:7], v[17:18]
	v_add_f64 v[6:7], v[6:7], -v[17:18]
	v_add_f64 v[4:5], v[4:5], v[15:16]
	v_mul_f64 v[8:9], v[8:9], 0.5
	v_mul_f64 v[17:18], v[19:20], 0.5
	;; [unrolled: 1-line block ×3, first 2 shown]
	v_lshlrev_b64 v[19:20], 4, v[92:93]
	v_add_u32_e32 v92, 0x46e, v88
	s_waitcnt vmcnt(1)
	v_mul_f64 v[15:16], v[8:9], v[13:14]
	v_fma_f64 v[21:22], v[17:18], v[13:14], v[6:7]
	v_fma_f64 v[13:14], v[17:18], v[13:14], -v[6:7]
	v_fma_f64 v[23:24], v[4:5], 0.5, v[15:16]
	v_fma_f64 v[25:26], v[4:5], 0.5, -v[15:16]
	v_add_co_u32_e32 v4, vcc, s6, v19
	v_addc_co_u32_e32 v5, vcc, v27, v20, vcc
	global_load_dwordx4 v[4:7], v[4:5], off
	v_fma_f64 v[15:16], -v[11:12], v[8:9], v[21:22]
	v_fma_f64 v[19:20], -v[11:12], v[8:9], v[13:14]
	v_fma_f64 v[13:14], v[17:18], v[11:12], v[23:24]
	v_fma_f64 v[17:18], -v[17:18], v[11:12], v[25:26]
	ds_write_b128 v103, v[13:16] offset:14256
	ds_write_b128 v10, v[17:20] offset:24624
	ds_read_b128 v[11:14], v103 offset:15552
	ds_read_b128 v[15:18], v10 offset:23328
	s_waitcnt lgkmcnt(0)
	v_add_f64 v[8:9], v[11:12], -v[15:16]
	v_add_f64 v[19:20], v[13:14], v[17:18]
	v_add_f64 v[13:14], v[13:14], -v[17:18]
	v_add_f64 v[11:12], v[11:12], v[15:16]
	v_lshlrev_b64 v[17:18], 4, v[92:93]
	v_mul_f64 v[8:9], v[8:9], 0.5
	v_mul_f64 v[19:20], v[19:20], 0.5
	;; [unrolled: 1-line block ×3, first 2 shown]
	s_waitcnt vmcnt(1)
	v_mul_f64 v[15:16], v[8:9], v[2:3]
	v_fma_f64 v[21:22], v[19:20], v[2:3], v[13:14]
	v_fma_f64 v[2:3], v[19:20], v[2:3], -v[13:14]
	v_fma_f64 v[23:24], v[11:12], 0.5, v[15:16]
	v_fma_f64 v[25:26], v[11:12], 0.5, -v[15:16]
	v_add_co_u32_e32 v11, vcc, s6, v17
	v_addc_co_u32_e32 v12, vcc, v27, v18, vcc
	global_load_dwordx4 v[11:14], v[11:12], off
	v_fma_f64 v[17:18], -v[0:1], v[8:9], v[21:22]
	v_fma_f64 v[15:16], v[19:20], v[0:1], v[23:24]
	v_fma_f64 v[2:3], -v[0:1], v[8:9], v[2:3]
	v_fma_f64 v[0:1], -v[19:20], v[0:1], v[25:26]
	ds_write_b128 v103, v[15:18] offset:15552
	ds_write_b128 v10, v[0:3] offset:23328
	ds_read_b128 v[0:3], v103 offset:16848
	ds_read_b128 v[15:18], v10 offset:22032
	s_waitcnt lgkmcnt(0)
	v_add_f64 v[8:9], v[0:1], -v[15:16]
	v_add_f64 v[19:20], v[2:3], v[17:18]
	v_add_f64 v[2:3], v[2:3], -v[17:18]
	v_add_f64 v[0:1], v[0:1], v[15:16]
	v_mul_f64 v[8:9], v[8:9], 0.5
	v_mul_f64 v[17:18], v[19:20], 0.5
	;; [unrolled: 1-line block ×3, first 2 shown]
	s_waitcnt vmcnt(1)
	v_mul_f64 v[15:16], v[8:9], v[6:7]
	v_fma_f64 v[19:20], v[17:18], v[6:7], v[2:3]
	v_fma_f64 v[6:7], v[17:18], v[6:7], -v[2:3]
	v_fma_f64 v[21:22], v[0:1], 0.5, v[15:16]
	v_fma_f64 v[15:16], v[0:1], 0.5, -v[15:16]
	v_fma_f64 v[2:3], -v[4:5], v[8:9], v[19:20]
	v_fma_f64 v[6:7], -v[4:5], v[8:9], v[6:7]
	v_fma_f64 v[0:1], v[17:18], v[4:5], v[21:22]
	v_fma_f64 v[4:5], -v[17:18], v[4:5], v[15:16]
	ds_write_b128 v103, v[0:3] offset:16848
	ds_write_b128 v10, v[4:7] offset:22032
	ds_read_b128 v[0:3], v103 offset:18144
	ds_read_b128 v[4:7], v10 offset:20736
	s_waitcnt lgkmcnt(0)
	v_add_f64 v[8:9], v[0:1], -v[4:5]
	v_add_f64 v[15:16], v[2:3], v[6:7]
	v_add_f64 v[2:3], v[2:3], -v[6:7]
	v_add_f64 v[0:1], v[0:1], v[4:5]
	v_mul_f64 v[6:7], v[8:9], 0.5
	v_mul_f64 v[8:9], v[15:16], 0.5
	;; [unrolled: 1-line block ×3, first 2 shown]
	s_waitcnt vmcnt(0)
	v_mul_f64 v[4:5], v[6:7], v[13:14]
	v_fma_f64 v[15:16], v[8:9], v[13:14], v[2:3]
	v_fma_f64 v[13:14], v[8:9], v[13:14], -v[2:3]
	v_fma_f64 v[17:18], v[0:1], 0.5, v[4:5]
	v_fma_f64 v[4:5], v[0:1], 0.5, -v[4:5]
	v_fma_f64 v[2:3], -v[11:12], v[6:7], v[15:16]
	v_fma_f64 v[6:7], -v[11:12], v[6:7], v[13:14]
	v_fma_f64 v[0:1], v[8:9], v[11:12], v[17:18]
	v_fma_f64 v[4:5], -v[8:9], v[11:12], v[4:5]
	ds_write_b128 v103, v[0:3] offset:18144
	ds_write_b128 v10, v[4:7] offset:20736
	s_waitcnt lgkmcnt(0)
	s_barrier
	s_and_saveexec_b64 s[4:5], s[0:1]
	s_cbranch_execz .LBB0_20
; %bb.18:
	v_mov_b32_e32 v89, v93
	ds_read_b128 v[2:5], v103
	ds_read_b128 v[6:9], v103 offset:1296
	ds_read_b128 v[10:13], v103 offset:2592
	;; [unrolled: 1-line block ×3, first 2 shown]
	v_mov_b32_e32 v0, s3
	v_add_co_u32_e32 v1, vcc, s2, v90
	v_lshlrev_b64 v[18:19], 4, v[88:89]
	v_addc_co_u32_e32 v0, vcc, v0, v91, vcc
	v_add_co_u32_e32 v18, vcc, v1, v18
	v_addc_co_u32_e32 v19, vcc, v0, v19, vcc
	s_waitcnt lgkmcnt(3)
	global_store_dwordx4 v[18:19], v[2:5], off
	s_waitcnt lgkmcnt(2)
	global_store_dwordx4 v[18:19], v[6:9], off offset:1296
	s_waitcnt lgkmcnt(1)
	global_store_dwordx4 v[18:19], v[10:13], off offset:2592
	s_waitcnt lgkmcnt(0)
	global_store_dwordx4 v[18:19], v[14:17], off offset:3888
	ds_read_b128 v[2:5], v103 offset:5184
	ds_read_b128 v[6:9], v103 offset:6480
	ds_read_b128 v[10:13], v103 offset:7776
	s_movk_i32 s0, 0x1000
	v_add_co_u32_e32 v14, vcc, s0, v18
	v_addc_co_u32_e32 v15, vcc, 0, v19, vcc
	s_waitcnt lgkmcnt(2)
	global_store_dwordx4 v[14:15], v[2:5], off offset:1088
	s_waitcnt lgkmcnt(1)
	global_store_dwordx4 v[14:15], v[6:9], off offset:2384
	s_waitcnt lgkmcnt(0)
	global_store_dwordx4 v[14:15], v[10:13], off offset:3680
	ds_read_b128 v[2:5], v103 offset:9072
	ds_read_b128 v[6:9], v103 offset:10368
	ds_read_b128 v[10:13], v103 offset:11664
	s_movk_i32 s0, 0x2000
	v_add_co_u32_e32 v14, vcc, s0, v18
	v_addc_co_u32_e32 v15, vcc, 0, v19, vcc
	;; [unrolled: 12-line block ×5, first 2 shown]
	s_waitcnt lgkmcnt(2)
	global_store_dwordx4 v[14:15], v[2:5], off offset:256
	s_waitcnt lgkmcnt(1)
	global_store_dwordx4 v[14:15], v[6:9], off offset:1552
	;; [unrolled: 2-line block ×3, first 2 shown]
	ds_read_b128 v[2:5], v103 offset:24624
	ds_read_b128 v[6:9], v103 offset:25920
	;; [unrolled: 1-line block ×4, first 2 shown]
	s_movk_i32 s0, 0x6000
	v_add_co_u32_e32 v20, vcc, s0, v18
	v_addc_co_u32_e32 v21, vcc, 0, v19, vcc
	s_waitcnt lgkmcnt(3)
	global_store_dwordx4 v[20:21], v[2:5], off offset:48
	s_waitcnt lgkmcnt(2)
	global_store_dwordx4 v[20:21], v[6:9], off offset:1344
	;; [unrolled: 2-line block ×4, first 2 shown]
	ds_read_b128 v[2:5], v103 offset:29808
	ds_read_b128 v[6:9], v103 offset:31104
	;; [unrolled: 1-line block ×3, first 2 shown]
	s_movk_i32 s0, 0x7000
	v_add_co_u32_e32 v14, vcc, s0, v18
	v_addc_co_u32_e32 v15, vcc, 0, v19, vcc
	s_waitcnt lgkmcnt(2)
	global_store_dwordx4 v[14:15], v[2:5], off offset:1136
	s_waitcnt lgkmcnt(1)
	global_store_dwordx4 v[14:15], v[6:9], off offset:2432
	s_waitcnt lgkmcnt(0)
	global_store_dwordx4 v[14:15], v[10:13], off offset:3728
	ds_read_b128 v[2:5], v103 offset:33696
	ds_read_b128 v[6:9], v103 offset:34992
	;; [unrolled: 1-line block ×3, first 2 shown]
	s_mov_b32 s0, 0x8000
	v_add_co_u32_e32 v14, vcc, s0, v18
	v_addc_co_u32_e32 v15, vcc, 0, v19, vcc
	s_waitcnt lgkmcnt(2)
	global_store_dwordx4 v[14:15], v[2:5], off offset:928
	s_waitcnt lgkmcnt(1)
	global_store_dwordx4 v[14:15], v[6:9], off offset:2224
	ds_read_b128 v[2:5], v103 offset:37584
	v_add_co_u32_e32 v6, vcc, 0x9000, v18
	v_addc_co_u32_e32 v7, vcc, 0, v19, vcc
	s_movk_i32 s0, 0x50
	v_cmp_eq_u32_e32 vcc, s0, v88
	s_waitcnt lgkmcnt(1)
	global_store_dwordx4 v[14:15], v[10:13], off offset:3520
	s_waitcnt lgkmcnt(0)
	global_store_dwordx4 v[6:7], v[2:5], off offset:720
	s_and_b64 exec, exec, vcc
	s_cbranch_execz .LBB0_20
; %bb.19:
	v_mov_b32_e32 v2, 0
	ds_read_b128 v[2:5], v2 offset:38880
	v_add_co_u32_e32 v6, vcc, 0x9000, v1
	v_addc_co_u32_e32 v7, vcc, 0, v0, vcc
	s_waitcnt lgkmcnt(0)
	global_store_dwordx4 v[6:7], v[2:5], off offset:2016
.LBB0_20:
	s_endpgm
	.section	.rodata,"a",@progbits
	.p2align	6, 0x0
	.amdhsa_kernel fft_rtc_back_len2430_factors_10_3_3_3_3_3_wgs_81_tpt_81_halfLds_dp_ip_CI_unitstride_sbrr_R2C_dirReg
		.amdhsa_group_segment_fixed_size 0
		.amdhsa_private_segment_fixed_size 0
		.amdhsa_kernarg_size 88
		.amdhsa_user_sgpr_count 6
		.amdhsa_user_sgpr_private_segment_buffer 1
		.amdhsa_user_sgpr_dispatch_ptr 0
		.amdhsa_user_sgpr_queue_ptr 0
		.amdhsa_user_sgpr_kernarg_segment_ptr 1
		.amdhsa_user_sgpr_dispatch_id 0
		.amdhsa_user_sgpr_flat_scratch_init 0
		.amdhsa_user_sgpr_private_segment_size 0
		.amdhsa_uses_dynamic_stack 0
		.amdhsa_system_sgpr_private_segment_wavefront_offset 0
		.amdhsa_system_sgpr_workgroup_id_x 1
		.amdhsa_system_sgpr_workgroup_id_y 0
		.amdhsa_system_sgpr_workgroup_id_z 0
		.amdhsa_system_sgpr_workgroup_info 0
		.amdhsa_system_vgpr_workitem_id 0
		.amdhsa_next_free_vgpr 190
		.amdhsa_next_free_sgpr 22
		.amdhsa_reserve_vcc 1
		.amdhsa_reserve_flat_scratch 0
		.amdhsa_float_round_mode_32 0
		.amdhsa_float_round_mode_16_64 0
		.amdhsa_float_denorm_mode_32 3
		.amdhsa_float_denorm_mode_16_64 3
		.amdhsa_dx10_clamp 1
		.amdhsa_ieee_mode 1
		.amdhsa_fp16_overflow 0
		.amdhsa_exception_fp_ieee_invalid_op 0
		.amdhsa_exception_fp_denorm_src 0
		.amdhsa_exception_fp_ieee_div_zero 0
		.amdhsa_exception_fp_ieee_overflow 0
		.amdhsa_exception_fp_ieee_underflow 0
		.amdhsa_exception_fp_ieee_inexact 0
		.amdhsa_exception_int_div_zero 0
	.end_amdhsa_kernel
	.text
.Lfunc_end0:
	.size	fft_rtc_back_len2430_factors_10_3_3_3_3_3_wgs_81_tpt_81_halfLds_dp_ip_CI_unitstride_sbrr_R2C_dirReg, .Lfunc_end0-fft_rtc_back_len2430_factors_10_3_3_3_3_3_wgs_81_tpt_81_halfLds_dp_ip_CI_unitstride_sbrr_R2C_dirReg
                                        ; -- End function
	.section	.AMDGPU.csdata,"",@progbits
; Kernel info:
; codeLenInByte = 25136
; NumSgprs: 26
; NumVgprs: 190
; ScratchSize: 0
; MemoryBound: 0
; FloatMode: 240
; IeeeMode: 1
; LDSByteSize: 0 bytes/workgroup (compile time only)
; SGPRBlocks: 3
; VGPRBlocks: 47
; NumSGPRsForWavesPerEU: 26
; NumVGPRsForWavesPerEU: 190
; Occupancy: 1
; WaveLimiterHint : 1
; COMPUTE_PGM_RSRC2:SCRATCH_EN: 0
; COMPUTE_PGM_RSRC2:USER_SGPR: 6
; COMPUTE_PGM_RSRC2:TRAP_HANDLER: 0
; COMPUTE_PGM_RSRC2:TGID_X_EN: 1
; COMPUTE_PGM_RSRC2:TGID_Y_EN: 0
; COMPUTE_PGM_RSRC2:TGID_Z_EN: 0
; COMPUTE_PGM_RSRC2:TIDIG_COMP_CNT: 0
	.type	__hip_cuid_d2d3eb00d2ef531f,@object ; @__hip_cuid_d2d3eb00d2ef531f
	.section	.bss,"aw",@nobits
	.globl	__hip_cuid_d2d3eb00d2ef531f
__hip_cuid_d2d3eb00d2ef531f:
	.byte	0                               ; 0x0
	.size	__hip_cuid_d2d3eb00d2ef531f, 1

	.ident	"AMD clang version 19.0.0git (https://github.com/RadeonOpenCompute/llvm-project roc-6.4.0 25133 c7fe45cf4b819c5991fe208aaa96edf142730f1d)"
	.section	".note.GNU-stack","",@progbits
	.addrsig
	.addrsig_sym __hip_cuid_d2d3eb00d2ef531f
	.amdgpu_metadata
---
amdhsa.kernels:
  - .args:
      - .actual_access:  read_only
        .address_space:  global
        .offset:         0
        .size:           8
        .value_kind:     global_buffer
      - .offset:         8
        .size:           8
        .value_kind:     by_value
      - .actual_access:  read_only
        .address_space:  global
        .offset:         16
        .size:           8
        .value_kind:     global_buffer
      - .actual_access:  read_only
        .address_space:  global
        .offset:         24
        .size:           8
        .value_kind:     global_buffer
      - .offset:         32
        .size:           8
        .value_kind:     by_value
      - .actual_access:  read_only
        .address_space:  global
        .offset:         40
        .size:           8
        .value_kind:     global_buffer
      - .actual_access:  read_only
        .address_space:  global
        .offset:         48
        .size:           8
        .value_kind:     global_buffer
      - .offset:         56
        .size:           4
        .value_kind:     by_value
      - .actual_access:  read_only
        .address_space:  global
        .offset:         64
        .size:           8
        .value_kind:     global_buffer
      - .actual_access:  read_only
        .address_space:  global
        .offset:         72
        .size:           8
        .value_kind:     global_buffer
      - .address_space:  global
        .offset:         80
        .size:           8
        .value_kind:     global_buffer
    .group_segment_fixed_size: 0
    .kernarg_segment_align: 8
    .kernarg_segment_size: 88
    .language:       OpenCL C
    .language_version:
      - 2
      - 0
    .max_flat_workgroup_size: 81
    .name:           fft_rtc_back_len2430_factors_10_3_3_3_3_3_wgs_81_tpt_81_halfLds_dp_ip_CI_unitstride_sbrr_R2C_dirReg
    .private_segment_fixed_size: 0
    .sgpr_count:     26
    .sgpr_spill_count: 0
    .symbol:         fft_rtc_back_len2430_factors_10_3_3_3_3_3_wgs_81_tpt_81_halfLds_dp_ip_CI_unitstride_sbrr_R2C_dirReg.kd
    .uniform_work_group_size: 1
    .uses_dynamic_stack: false
    .vgpr_count:     190
    .vgpr_spill_count: 0
    .wavefront_size: 64
amdhsa.target:   amdgcn-amd-amdhsa--gfx906
amdhsa.version:
  - 1
  - 2
...

	.end_amdgpu_metadata
